;; amdgpu-corpus repo=ROCm/rocFFT kind=compiled arch=gfx1030 opt=O3
	.text
	.amdgcn_target "amdgcn-amd-amdhsa--gfx1030"
	.amdhsa_code_object_version 6
	.protected	fft_rtc_fwd_len507_factors_13_3_13_wgs_117_tpt_39_halfLds_dp_op_CI_CI_unitstride_sbrr_dirReg ; -- Begin function fft_rtc_fwd_len507_factors_13_3_13_wgs_117_tpt_39_halfLds_dp_op_CI_CI_unitstride_sbrr_dirReg
	.globl	fft_rtc_fwd_len507_factors_13_3_13_wgs_117_tpt_39_halfLds_dp_op_CI_CI_unitstride_sbrr_dirReg
	.p2align	8
	.type	fft_rtc_fwd_len507_factors_13_3_13_wgs_117_tpt_39_halfLds_dp_op_CI_CI_unitstride_sbrr_dirReg,@function
fft_rtc_fwd_len507_factors_13_3_13_wgs_117_tpt_39_halfLds_dp_op_CI_CI_unitstride_sbrr_dirReg: ; @fft_rtc_fwd_len507_factors_13_3_13_wgs_117_tpt_39_halfLds_dp_op_CI_CI_unitstride_sbrr_dirReg
; %bb.0:
	s_load_dwordx4 s[12:15], s[4:5], 0x0
	v_mul_u32_u24_e32 v1, 0x691, v0
	s_clause 0x1
	s_load_dwordx4 s[8:11], s[4:5], 0x58
	s_load_dwordx4 s[16:19], s[4:5], 0x18
	v_mov_b32_e32 v4, 0
	v_mov_b32_e32 v5, 0
	v_lshrrev_b32_e32 v2, 16, v1
	v_mov_b32_e32 v1, 0
	v_mov_b32_e32 v77, v5
	;; [unrolled: 1-line block ×3, first 2 shown]
	v_mad_u64_u32 v[52:53], null, s6, 3, v[2:3]
	v_mov_b32_e32 v53, v1
	v_mov_b32_e32 v79, v53
	;; [unrolled: 1-line block ×3, first 2 shown]
	s_waitcnt lgkmcnt(0)
	v_cmp_lt_u64_e64 s0, s[14:15], 2
	s_and_b32 vcc_lo, exec_lo, s0
	s_cbranch_vccnz .LBB0_8
; %bb.1:
	s_load_dwordx2 s[0:1], s[4:5], 0x10
	v_mov_b32_e32 v4, 0
	v_mov_b32_e32 v5, 0
	s_add_u32 s2, s18, 8
	v_mov_b32_e32 v6, v52
	s_addc_u32 s3, s19, 0
	v_mov_b32_e32 v7, v53
	v_mov_b32_e32 v77, v5
	s_add_u32 s6, s16, 8
	v_mov_b32_e32 v76, v4
	s_addc_u32 s7, s17, 0
	s_mov_b64 s[22:23], 1
	s_waitcnt lgkmcnt(0)
	s_add_u32 s20, s0, 8
	s_addc_u32 s21, s1, 0
.LBB0_2:                                ; =>This Inner Loop Header: Depth=1
	s_load_dwordx2 s[24:25], s[20:21], 0x0
                                        ; implicit-def: $vgpr78_vgpr79
	s_mov_b32 s0, exec_lo
	s_waitcnt lgkmcnt(0)
	v_or_b32_e32 v2, s25, v7
	v_cmpx_ne_u64_e32 0, v[1:2]
	s_xor_b32 s1, exec_lo, s0
	s_cbranch_execz .LBB0_4
; %bb.3:                                ;   in Loop: Header=BB0_2 Depth=1
	v_cvt_f32_u32_e32 v2, s24
	v_cvt_f32_u32_e32 v3, s25
	s_sub_u32 s0, 0, s24
	s_subb_u32 s26, 0, s25
	v_fmac_f32_e32 v2, 0x4f800000, v3
	v_rcp_f32_e32 v2, v2
	v_mul_f32_e32 v2, 0x5f7ffffc, v2
	v_mul_f32_e32 v3, 0x2f800000, v2
	v_trunc_f32_e32 v3, v3
	v_fmac_f32_e32 v2, 0xcf800000, v3
	v_cvt_u32_f32_e32 v3, v3
	v_cvt_u32_f32_e32 v2, v2
	v_mul_lo_u32 v8, s0, v3
	v_mul_hi_u32 v9, s0, v2
	v_mul_lo_u32 v10, s26, v2
	v_add_nc_u32_e32 v8, v9, v8
	v_mul_lo_u32 v9, s0, v2
	v_add_nc_u32_e32 v8, v8, v10
	v_mul_hi_u32 v10, v2, v9
	v_mul_lo_u32 v11, v2, v8
	v_mul_hi_u32 v12, v2, v8
	v_mul_hi_u32 v13, v3, v9
	v_mul_lo_u32 v9, v3, v9
	v_mul_hi_u32 v14, v3, v8
	v_mul_lo_u32 v8, v3, v8
	v_add_co_u32 v10, vcc_lo, v10, v11
	v_add_co_ci_u32_e32 v11, vcc_lo, 0, v12, vcc_lo
	v_add_co_u32 v9, vcc_lo, v10, v9
	v_add_co_ci_u32_e32 v9, vcc_lo, v11, v13, vcc_lo
	v_add_co_ci_u32_e32 v10, vcc_lo, 0, v14, vcc_lo
	v_add_co_u32 v8, vcc_lo, v9, v8
	v_add_co_ci_u32_e32 v9, vcc_lo, 0, v10, vcc_lo
	v_add_co_u32 v2, vcc_lo, v2, v8
	v_add_co_ci_u32_e32 v3, vcc_lo, v3, v9, vcc_lo
	v_mul_hi_u32 v8, s0, v2
	v_mul_lo_u32 v10, s26, v2
	v_mul_lo_u32 v9, s0, v3
	v_add_nc_u32_e32 v8, v8, v9
	v_mul_lo_u32 v9, s0, v2
	v_add_nc_u32_e32 v8, v8, v10
	v_mul_hi_u32 v10, v2, v9
	v_mul_lo_u32 v11, v2, v8
	v_mul_hi_u32 v12, v2, v8
	v_mul_hi_u32 v13, v3, v9
	v_mul_lo_u32 v9, v3, v9
	v_mul_hi_u32 v14, v3, v8
	v_mul_lo_u32 v8, v3, v8
	v_add_co_u32 v10, vcc_lo, v10, v11
	v_add_co_ci_u32_e32 v11, vcc_lo, 0, v12, vcc_lo
	v_add_co_u32 v9, vcc_lo, v10, v9
	v_add_co_ci_u32_e32 v9, vcc_lo, v11, v13, vcc_lo
	v_add_co_ci_u32_e32 v10, vcc_lo, 0, v14, vcc_lo
	v_add_co_u32 v8, vcc_lo, v9, v8
	v_add_co_ci_u32_e32 v9, vcc_lo, 0, v10, vcc_lo
	v_add_co_u32 v8, vcc_lo, v2, v8
	v_add_co_ci_u32_e32 v10, vcc_lo, v3, v9, vcc_lo
	v_mul_hi_u32 v12, v6, v8
	v_mad_u64_u32 v[8:9], null, v7, v8, 0
	v_mad_u64_u32 v[2:3], null, v6, v10, 0
	;; [unrolled: 1-line block ×3, first 2 shown]
	v_add_co_u32 v2, vcc_lo, v12, v2
	v_add_co_ci_u32_e32 v3, vcc_lo, 0, v3, vcc_lo
	v_add_co_u32 v2, vcc_lo, v2, v8
	v_add_co_ci_u32_e32 v2, vcc_lo, v3, v9, vcc_lo
	v_add_co_ci_u32_e32 v3, vcc_lo, 0, v11, vcc_lo
	v_add_co_u32 v8, vcc_lo, v2, v10
	v_add_co_ci_u32_e32 v9, vcc_lo, 0, v3, vcc_lo
	v_mul_lo_u32 v10, s25, v8
	v_mad_u64_u32 v[2:3], null, s24, v8, 0
	v_mul_lo_u32 v11, s24, v9
	v_sub_co_u32 v2, vcc_lo, v6, v2
	v_add3_u32 v3, v3, v11, v10
	v_sub_nc_u32_e32 v10, v7, v3
	v_subrev_co_ci_u32_e64 v10, s0, s25, v10, vcc_lo
	v_add_co_u32 v11, s0, v8, 2
	v_add_co_ci_u32_e64 v12, s0, 0, v9, s0
	v_sub_co_u32 v13, s0, v2, s24
	v_sub_co_ci_u32_e32 v3, vcc_lo, v7, v3, vcc_lo
	v_subrev_co_ci_u32_e64 v10, s0, 0, v10, s0
	v_cmp_le_u32_e32 vcc_lo, s24, v13
	v_cmp_eq_u32_e64 s0, s25, v3
	v_cndmask_b32_e64 v13, 0, -1, vcc_lo
	v_cmp_le_u32_e32 vcc_lo, s25, v10
	v_cndmask_b32_e64 v14, 0, -1, vcc_lo
	v_cmp_le_u32_e32 vcc_lo, s24, v2
	;; [unrolled: 2-line block ×3, first 2 shown]
	v_cndmask_b32_e64 v15, 0, -1, vcc_lo
	v_cmp_eq_u32_e32 vcc_lo, s25, v10
	v_cndmask_b32_e64 v2, v15, v2, s0
	v_cndmask_b32_e32 v10, v14, v13, vcc_lo
	v_add_co_u32 v13, vcc_lo, v8, 1
	v_add_co_ci_u32_e32 v14, vcc_lo, 0, v9, vcc_lo
	v_cmp_ne_u32_e32 vcc_lo, 0, v10
	v_cndmask_b32_e32 v3, v14, v12, vcc_lo
	v_cndmask_b32_e32 v10, v13, v11, vcc_lo
	v_cmp_ne_u32_e32 vcc_lo, 0, v2
	v_cndmask_b32_e32 v79, v9, v3, vcc_lo
	v_cndmask_b32_e32 v78, v8, v10, vcc_lo
.LBB0_4:                                ;   in Loop: Header=BB0_2 Depth=1
	s_andn2_saveexec_b32 s0, s1
	s_cbranch_execz .LBB0_6
; %bb.5:                                ;   in Loop: Header=BB0_2 Depth=1
	v_cvt_f32_u32_e32 v2, s24
	s_sub_i32 s1, 0, s24
	v_mov_b32_e32 v79, v1
	v_rcp_iflag_f32_e32 v2, v2
	v_mul_f32_e32 v2, 0x4f7ffffe, v2
	v_cvt_u32_f32_e32 v2, v2
	v_mul_lo_u32 v3, s1, v2
	v_mul_hi_u32 v3, v2, v3
	v_add_nc_u32_e32 v2, v2, v3
	v_mul_hi_u32 v2, v6, v2
	v_mul_lo_u32 v3, v2, s24
	v_add_nc_u32_e32 v8, 1, v2
	v_sub_nc_u32_e32 v3, v6, v3
	v_subrev_nc_u32_e32 v9, s24, v3
	v_cmp_le_u32_e32 vcc_lo, s24, v3
	v_cndmask_b32_e32 v3, v3, v9, vcc_lo
	v_cndmask_b32_e32 v2, v2, v8, vcc_lo
	v_cmp_le_u32_e32 vcc_lo, s24, v3
	v_add_nc_u32_e32 v8, 1, v2
	v_cndmask_b32_e32 v78, v2, v8, vcc_lo
.LBB0_6:                                ;   in Loop: Header=BB0_2 Depth=1
	s_or_b32 exec_lo, exec_lo, s0
	v_mul_lo_u32 v8, v79, s24
	v_mul_lo_u32 v9, v78, s25
	s_load_dwordx2 s[0:1], s[6:7], 0x0
	v_mad_u64_u32 v[2:3], null, v78, s24, 0
	s_load_dwordx2 s[24:25], s[2:3], 0x0
	s_add_u32 s22, s22, 1
	s_addc_u32 s23, s23, 0
	s_add_u32 s2, s2, 8
	s_addc_u32 s3, s3, 0
	s_add_u32 s6, s6, 8
	v_add3_u32 v3, v3, v9, v8
	v_sub_co_u32 v2, vcc_lo, v6, v2
	s_addc_u32 s7, s7, 0
	s_add_u32 s20, s20, 8
	v_sub_co_ci_u32_e32 v3, vcc_lo, v7, v3, vcc_lo
	s_addc_u32 s21, s21, 0
	s_waitcnt lgkmcnt(0)
	v_mul_lo_u32 v6, s0, v3
	v_mul_lo_u32 v7, s1, v2
	v_mad_u64_u32 v[4:5], null, s0, v2, v[4:5]
	v_mul_lo_u32 v3, s24, v3
	v_mul_lo_u32 v8, s25, v2
	v_mad_u64_u32 v[76:77], null, s24, v2, v[76:77]
	v_cmp_ge_u64_e64 s0, s[22:23], s[14:15]
	v_add3_u32 v5, v7, v5, v6
	v_add3_u32 v77, v8, v77, v3
	s_and_b32 vcc_lo, exec_lo, s0
	s_cbranch_vccnz .LBB0_8
; %bb.7:                                ;   in Loop: Header=BB0_2 Depth=1
	v_mov_b32_e32 v6, v78
	v_mov_b32_e32 v7, v79
	s_branch .LBB0_2
.LBB0_8:
	s_load_dwordx2 s[0:1], s[4:5], 0x28
	v_mul_hi_u32 v1, 0x6906907, v0
	s_lshl_b64 s[4:5], s[14:15], 3
                                        ; implicit-def: $sgpr6_sgpr7
                                        ; implicit-def: $vgpr82
	s_add_u32 s2, s18, s4
	s_addc_u32 s3, s19, s5
	s_waitcnt lgkmcnt(0)
	v_cmp_gt_u64_e32 vcc_lo, s[0:1], v[78:79]
	v_cmp_le_u64_e64 s0, s[0:1], v[78:79]
	s_and_saveexec_b32 s1, s0
	s_xor_b32 s0, exec_lo, s1
; %bb.9:
	v_mul_u32_u24_e32 v1, 39, v1
	s_mov_b64 s[6:7], 0
                                        ; implicit-def: $vgpr4_vgpr5
	v_sub_nc_u32_e32 v82, v0, v1
                                        ; implicit-def: $vgpr1
                                        ; implicit-def: $vgpr0
; %bb.10:
	s_or_saveexec_b32 s1, s0
	v_mov_b32_e32 v81, s7
	v_mov_b32_e32 v80, s6
                                        ; implicit-def: $vgpr6_vgpr7
                                        ; implicit-def: $vgpr10_vgpr11
                                        ; implicit-def: $vgpr14_vgpr15
                                        ; implicit-def: $vgpr18_vgpr19
                                        ; implicit-def: $vgpr22_vgpr23
                                        ; implicit-def: $vgpr26_vgpr27
                                        ; implicit-def: $vgpr30_vgpr31
                                        ; implicit-def: $vgpr34_vgpr35
                                        ; implicit-def: $vgpr42_vgpr43
                                        ; implicit-def: $vgpr38_vgpr39
                                        ; implicit-def: $vgpr46_vgpr47
                                        ; implicit-def: $vgpr50_vgpr51
                                        ; implicit-def: $vgpr2_vgpr3
	s_xor_b32 exec_lo, exec_lo, s1
	s_cbranch_execz .LBB0_12
; %bb.11:
	s_add_u32 s4, s16, s4
	s_addc_u32 s5, s17, s5
	v_mov_b32_e32 v83, 0
	s_load_dwordx2 s[4:5], s[4:5], 0x0
	s_waitcnt lgkmcnt(0)
	v_mul_lo_u32 v6, s5, v78
	v_mul_lo_u32 v7, s4, v79
	v_mad_u64_u32 v[2:3], null, s4, v78, 0
	v_add3_u32 v3, v3, v7, v6
	v_mul_u32_u24_e32 v6, 39, v1
	v_lshlrev_b64 v[1:2], 4, v[2:3]
	v_lshlrev_b64 v[3:4], 4, v[4:5]
	v_sub_nc_u32_e32 v82, v0, v6
	v_add_co_u32 v0, s0, s8, v1
	v_add_co_ci_u32_e64 v1, s0, s9, v2, s0
	v_lshlrev_b32_e32 v2, 4, v82
	v_add_co_u32 v0, s0, v0, v3
	v_add_co_ci_u32_e64 v1, s0, v1, v4, s0
	v_mov_b32_e32 v80, v82
	v_add_co_u32 v4, s0, v0, v2
	v_add_co_ci_u32_e64 v5, s0, 0, v1, s0
	v_mov_b32_e32 v81, v83
	v_add_co_u32 v6, s0, 0x800, v4
	v_add_co_ci_u32_e64 v7, s0, 0, v5, s0
	v_add_co_u32 v8, s0, 0x1000, v4
	v_add_co_ci_u32_e64 v9, s0, 0, v5, s0
	s_clause 0x3
	global_load_dwordx4 v[0:3], v[4:5], off
	global_load_dwordx4 v[48:51], v[4:5], off offset:624
	global_load_dwordx4 v[44:47], v[4:5], off offset:1248
	;; [unrolled: 1-line block ×3, first 2 shown]
	v_add_co_u32 v4, s0, 0x1800, v4
	v_add_co_ci_u32_e64 v5, s0, 0, v5, s0
	s_clause 0x8
	global_load_dwordx4 v[40:43], v[6:7], off offset:448
	global_load_dwordx4 v[32:35], v[6:7], off offset:1072
	global_load_dwordx4 v[28:31], v[6:7], off offset:1696
	global_load_dwordx4 v[24:27], v[8:9], off offset:272
	global_load_dwordx4 v[20:23], v[8:9], off offset:896
	global_load_dwordx4 v[16:19], v[8:9], off offset:1520
	global_load_dwordx4 v[12:15], v[4:5], off offset:96
	global_load_dwordx4 v[8:11], v[4:5], off offset:720
	global_load_dwordx4 v[4:7], v[4:5], off offset:1344
.LBB0_12:
	s_or_b32 exec_lo, exec_lo, s1
	s_waitcnt vmcnt(0)
	v_add_f64 v[55:56], v[4:5], v[48:49]
	v_add_f64 v[57:58], v[48:49], v[0:1]
	s_mov_b32 s4, 0x1ea71119
	s_mov_b32 s14, 0xebaa3ed8
	;; [unrolled: 1-line block ×4, first 2 shown]
	v_add_f64 v[53:54], v[50:51], -v[6:7]
	v_add_f64 v[59:60], v[8:9], v[44:45]
	s_mov_b32 s8, 0x42a4c3d2
	s_mov_b32 s6, 0xb2365da1
	;; [unrolled: 1-line block ×8, first 2 shown]
	v_add_f64 v[61:62], v[46:47], -v[10:11]
	v_add_f64 v[67:68], v[12:13], v[36:37]
	s_mov_b32 s34, 0x2ef20147
	s_mov_b32 s28, 0x4bc48dbf
	;; [unrolled: 1-line block ×4, first 2 shown]
	v_mul_f64 v[63:64], v[55:56], s[4:5]
	v_mul_f64 v[65:66], v[55:56], s[14:15]
	v_add_f64 v[57:58], v[44:45], v[57:58]
	v_mul_f64 v[99:100], v[55:56], s[6:7]
	v_add_f64 v[69:70], v[38:39], -v[14:15]
	v_add_f64 v[71:72], v[16:17], v[40:41]
	s_mov_b32 s16, 0xd0032e0c
	v_mul_f64 v[85:86], v[59:60], s[6:7]
	v_mul_f64 v[87:88], v[59:60], s[20:21]
	s_mov_b32 s17, 0xbfe7f3cc
	s_mov_b32 s18, 0xe00740e9
	v_mul_f64 v[107:108], v[55:56], s[16:17]
	v_mul_f64 v[119:120], v[59:60], s[16:17]
	;; [unrolled: 1-line block ×3, first 2 shown]
	s_mov_b32 s25, 0xbfedeba7
	s_mov_b32 s19, 0x3fec55a7
	;; [unrolled: 1-line block ×3, first 2 shown]
	v_mul_f64 v[101:102], v[67:68], s[20:21]
	v_mul_f64 v[103:104], v[67:68], s[6:7]
	v_add_f64 v[73:74], v[42:43], -v[18:19]
	v_mul_f64 v[55:56], v[55:56], s[18:19]
	s_mov_b32 s36, 0x24c2f84
	v_fma_f64 v[89:90], v[53:54], s[8:9], v[63:64]
	v_fma_f64 v[91:92], v[53:54], s[22:23], v[65:66]
	v_add_f64 v[57:58], v[36:37], v[57:58]
	v_fma_f64 v[121:122], v[53:54], s[34:35], v[99:100]
	s_mov_b32 s37, 0x3fe5384d
	v_mul_f64 v[105:106], v[71:72], s[16:17]
	s_mov_b32 s27, 0xbfe5384d
	v_fma_f64 v[109:110], v[61:62], s[34:35], v[85:86]
	v_fma_f64 v[111:112], v[61:62], s[28:29], v[87:88]
	s_mov_b32 s41, 0xbfcea1e5
	s_mov_b32 s26, s36
	;; [unrolled: 1-line block ×3, first 2 shown]
	v_add_f64 v[83:84], v[20:21], v[32:33]
	v_mul_f64 v[113:114], v[71:72], s[18:19]
	v_mul_f64 v[127:128], v[59:60], s[14:15]
	v_fma_f64 v[149:150], v[53:54], s[36:37], v[107:108]
	s_mov_b32 s30, 0x4267c47c
	v_fma_f64 v[145:146], v[69:70], s[28:29], v[101:102]
	v_fma_f64 v[147:148], v[69:70], s[24:25], v[103:104]
	s_mov_b32 s39, 0xbfefc445
	s_mov_b32 s43, 0xbfea55e2
	;; [unrolled: 1-line block ×3, first 2 shown]
	v_add_f64 v[89:90], v[0:1], v[89:90]
	v_add_f64 v[91:92], v[0:1], v[91:92]
	;; [unrolled: 1-line block ×3, first 2 shown]
	s_mov_b32 s42, s8
	v_mul_f64 v[139:140], v[59:60], s[18:19]
	v_fma_f64 v[155:156], v[53:54], s[28:29], v[129:130]
	v_fma_f64 v[129:130], v[53:54], s[40:41], v[129:130]
	s_mov_b32 s31, 0x3fddbe06
	s_mov_b32 s45, 0xbfddbe06
	;; [unrolled: 1-line block ×3, first 2 shown]
	v_fma_f64 v[99:100], v[53:54], s[24:25], v[99:100]
	v_fma_f64 v[107:108], v[53:54], s[26:27], v[107:108]
	;; [unrolled: 1-line block ×4, first 2 shown]
	v_mul_f64 v[59:60], v[59:60], s[4:5]
	v_add_f64 v[93:94], v[34:35], -v[22:23]
	v_mul_f64 v[115:116], v[83:84], s[14:15]
	v_mul_f64 v[117:118], v[83:84], s[4:5]
	v_mul_f64 v[131:132], v[67:68], s[18:19]
	v_mul_f64 v[133:134], v[67:68], s[4:5]
	v_fma_f64 v[151:152], v[73:74], s[44:45], v[113:114]
	v_fma_f64 v[163:164], v[61:62], s[38:39], v[127:128]
	v_add_f64 v[89:90], v[109:110], v[89:90]
	v_add_f64 v[91:92], v[111:112], v[91:92]
	;; [unrolled: 1-line block ×3, first 2 shown]
	v_fma_f64 v[109:110], v[61:62], s[26:27], v[119:120]
	v_add_f64 v[111:112], v[0:1], v[121:122]
	v_fma_f64 v[121:122], v[73:74], s[26:27], v[105:106]
	v_add_f64 v[149:150], v[0:1], v[149:150]
	v_mul_f64 v[141:142], v[67:68], s[16:17]
	v_add_f64 v[129:130], v[0:1], v[129:130]
	v_fma_f64 v[119:120], v[61:62], s[36:37], v[119:120]
	v_fma_f64 v[127:128], v[61:62], s[22:23], v[127:128]
	v_add_f64 v[99:100], v[0:1], v[99:100]
	v_add_f64 v[107:108], v[0:1], v[107:108]
	v_fma_f64 v[85:86], v[61:62], s[24:25], v[85:86]
	v_fma_f64 v[87:88], v[61:62], s[40:41], v[87:88]
	v_add_f64 v[63:64], v[0:1], v[63:64]
	v_add_f64 v[65:66], v[0:1], v[65:66]
	v_mul_f64 v[67:68], v[67:68], s[14:15]
	v_mul_f64 v[135:136], v[71:72], s[14:15]
	;; [unrolled: 1-line block ×3, first 2 shown]
	v_fma_f64 v[153:154], v[93:94], s[38:39], v[115:116]
	v_fma_f64 v[157:158], v[93:94], s[8:9], v[117:118]
	v_add_f64 v[89:90], v[145:146], v[89:90]
	v_add_f64 v[91:92], v[147:148], v[91:92]
	v_fma_f64 v[147:148], v[53:54], s[30:31], v[55:56]
	v_fma_f64 v[53:54], v[53:54], s[44:45], v[55:56]
	v_add_f64 v[55:56], v[28:29], v[57:58]
	v_add_f64 v[109:110], v[109:110], v[111:112]
	v_fma_f64 v[111:112], v[61:62], s[44:45], v[139:140]
	v_fma_f64 v[139:140], v[61:62], s[30:31], v[139:140]
	v_add_f64 v[57:58], v[0:1], v[155:156]
	v_fma_f64 v[145:146], v[69:70], s[44:45], v[131:132]
	v_fma_f64 v[165:166], v[69:70], s[8:9], v[133:134]
	v_add_f64 v[149:150], v[163:164], v[149:150]
	v_mul_f64 v[143:144], v[71:72], s[4:5]
	v_fma_f64 v[155:156], v[69:70], s[36:37], v[141:142]
	v_fma_f64 v[141:142], v[69:70], s[26:27], v[141:142]
	v_add_f64 v[99:100], v[119:120], v[99:100]
	v_add_f64 v[107:108], v[127:128], v[107:108]
	v_fma_f64 v[101:102], v[69:70], s[40:41], v[101:102]
	v_fma_f64 v[103:104], v[69:70], s[34:35], v[103:104]
	v_add_f64 v[63:64], v[85:86], v[63:64]
	v_add_f64 v[65:66], v[87:88], v[65:66]
	v_mul_f64 v[71:72], v[71:72], s[6:7]
	v_add_f64 v[89:90], v[121:122], v[89:90]
	v_fma_f64 v[121:122], v[61:62], s[8:9], v[59:60]
	v_add_f64 v[147:148], v[0:1], v[147:148]
	v_fma_f64 v[59:60], v[61:62], s[42:43], v[59:60]
	v_add_f64 v[0:1], v[0:1], v[53:54]
	v_add_f64 v[53:54], v[24:25], v[55:56]
	;; [unrolled: 1-line block ×3, first 2 shown]
	v_fma_f64 v[61:62], v[69:70], s[30:31], v[131:132]
	v_add_f64 v[55:56], v[111:112], v[57:58]
	v_add_f64 v[57:58], v[139:140], v[129:130]
	v_fma_f64 v[111:112], v[69:70], s[42:43], v[133:134]
	v_add_f64 v[95:96], v[24:25], v[28:29]
	v_fma_f64 v[167:168], v[73:74], s[22:23], v[135:136]
	v_fma_f64 v[151:152], v[73:74], s[40:41], v[137:138]
	v_add_f64 v[109:110], v[145:146], v[109:110]
	v_add_f64 v[85:86], v[165:166], v[149:150]
	v_mul_f64 v[127:128], v[83:84], s[18:19]
	v_mul_f64 v[129:130], v[83:84], s[6:7]
	v_add_f64 v[97:98], v[30:31], -v[26:27]
	v_add_f64 v[63:64], v[101:102], v[63:64]
	v_add_f64 v[65:66], v[103:104], v[65:66]
	v_fma_f64 v[101:102], v[73:74], s[36:37], v[105:106]
	v_add_f64 v[87:88], v[153:154], v[89:90]
	v_fma_f64 v[103:104], v[73:74], s[30:31], v[113:114]
	;; [unrolled: 2-line block ×3, first 2 shown]
	v_fma_f64 v[67:68], v[69:70], s[38:39], v[67:68]
	v_add_f64 v[0:1], v[59:60], v[0:1]
	v_add_f64 v[53:54], v[20:21], v[53:54]
	;; [unrolled: 1-line block ×3, first 2 shown]
	v_mul_f64 v[91:92], v[83:84], s[20:21]
	v_add_f64 v[55:56], v[155:156], v[55:56]
	v_add_f64 v[57:58], v[141:142], v[57:58]
	v_fma_f64 v[59:60], v[73:74], s[42:43], v[143:144]
	v_fma_f64 v[69:70], v[73:74], s[8:9], v[143:144]
	v_add_f64 v[61:62], v[61:62], v[99:100]
	v_add_f64 v[99:100], v[111:112], v[107:108]
	v_fma_f64 v[107:108], v[73:74], s[38:39], v[135:136]
	v_fma_f64 v[111:112], v[73:74], s[28:29], v[137:138]
	v_mul_f64 v[83:84], v[83:84], s[16:17]
	v_mul_f64 v[123:124], v[95:96], s[18:19]
	;; [unrolled: 1-line block ×3, first 2 shown]
	v_add_f64 v[109:110], v[167:168], v[109:110]
	v_add_f64 v[85:86], v[151:152], v[85:86]
	;; [unrolled: 1-line block ×4, first 2 shown]
	v_fma_f64 v[101:102], v[93:94], s[22:23], v[115:116]
	v_add_f64 v[113:114], v[121:122], v[119:120]
	v_fma_f64 v[119:120], v[73:74], s[34:35], v[71:72]
	v_fma_f64 v[71:72], v[73:74], s[24:25], v[71:72]
	v_add_f64 v[0:1], v[67:68], v[0:1]
	v_add_f64 v[53:54], v[16:17], v[53:54]
	v_fma_f64 v[105:106], v[93:94], s[40:41], v[91:92]
	v_fma_f64 v[121:122], v[93:94], s[44:45], v[127:128]
	v_mul_f64 v[67:68], v[95:96], s[4:5]
	v_mul_f64 v[73:74], v[95:96], s[6:7]
	v_add_f64 v[55:56], v[59:60], v[55:56]
	v_add_f64 v[57:58], v[69:70], v[57:58]
	v_fma_f64 v[59:60], v[93:94], s[34:35], v[129:130]
	v_fma_f64 v[69:70], v[93:94], s[24:25], v[129:130]
	v_mul_f64 v[129:130], v[95:96], s[14:15]
	v_add_f64 v[61:62], v[107:108], v[61:62]
	v_add_f64 v[99:100], v[111:112], v[99:100]
	v_fma_f64 v[91:92], v[93:94], s[28:29], v[91:92]
	v_fma_f64 v[107:108], v[93:94], s[30:31], v[127:128]
	;; [unrolled: 1-line block ×3, first 2 shown]
	v_mul_f64 v[95:96], v[95:96], s[20:21]
	v_mul_hi_u32 v75, 0xaaaaaaab, v52
	v_fma_f64 v[159:160], v[97:98], s[44:45], v[123:124]
	v_fma_f64 v[161:162], v[97:98], s[36:37], v[125:126]
	v_add_f64 v[111:112], v[119:120], v[113:114]
	v_fma_f64 v[113:114], v[93:94], s[36:37], v[83:84]
	v_fma_f64 v[83:84], v[93:94], s[26:27], v[83:84]
	v_add_f64 v[0:1], v[71:72], v[0:1]
	v_add_f64 v[53:54], v[12:13], v[53:54]
	;; [unrolled: 1-line block ×4, first 2 shown]
	v_fma_f64 v[93:94], v[97:98], s[42:43], v[67:68]
	v_fma_f64 v[105:106], v[97:98], s[34:35], v[73:74]
	;; [unrolled: 1-line block ×3, first 2 shown]
	v_add_f64 v[55:56], v[59:60], v[55:56]
	v_add_f64 v[57:58], v[69:70], v[57:58]
	v_fma_f64 v[59:60], v[97:98], s[38:39], v[129:130]
	v_fma_f64 v[69:70], v[97:98], s[22:23], v[129:130]
	;; [unrolled: 1-line block ×3, first 2 shown]
	v_add_f64 v[61:62], v[91:92], v[61:62]
	v_add_f64 v[99:100], v[107:108], v[99:100]
	;; [unrolled: 1-line block ×4, first 2 shown]
	v_fma_f64 v[101:102], v[97:98], s[30:31], v[123:124]
	v_fma_f64 v[103:104], v[97:98], s[26:27], v[125:126]
	;; [unrolled: 1-line block ×4, first 2 shown]
	v_add_f64 v[107:108], v[113:114], v[111:112]
	v_lshrrev_b32_e32 v75, 1, v75
	v_add_f64 v[0:1], v[83:84], v[0:1]
	v_add_f64 v[83:84], v[8:9], v[53:54]
	;; [unrolled: 1-line block ×4, first 2 shown]
	v_lshl_add_u32 v75, v75, 1, v75
	v_add_f64 v[71:72], v[93:94], v[71:72]
	v_add_f64 v[85:86], v[105:106], v[85:86]
	s_load_dwordx2 s[2:3], s[2:3], 0x0
	v_cmp_gt_u32_e64 s0, 13, v82
	v_sub_nc_u32_e32 v52, v52, v75
	v_add_f64 v[54:55], v[59:60], v[55:56]
	v_add_f64 v[56:57], v[69:70], v[57:58]
	;; [unrolled: 1-line block ×4, first 2 shown]
	v_mul_u32_u24_e32 v91, 0x1fb, v52
	v_add_f64 v[62:63], v[101:102], v[63:64]
	v_add_f64 v[64:65], v[103:104], v[65:66]
	v_lshl_add_u32 v75, v91, 3, 0
	v_add_f64 v[66:67], v[109:110], v[107:108]
	v_add_f64 v[52:53], v[95:96], v[0:1]
	;; [unrolled: 1-line block ×3, first 2 shown]
	v_mad_u32_u24 v92, 0x68, v82, v75
	v_lshl_add_u32 v89, v82, 3, v75
                                        ; implicit-def: $vgpr83_vgpr84
	ds_write2_b64 v92, v[87:88], v[97:98] offset0:2 offset1:3
	ds_write2_b64 v92, v[71:72], v[85:86] offset0:4 offset1:5
	;; [unrolled: 1-line block ×5, first 2 shown]
	ds_write_b64 v92, v[52:53] offset:96
	ds_write2_b64 v92, v[0:1], v[66:67] offset1:1
	v_mad_i32_i24 v90, 0xffffffa0, v82, v92
	s_waitcnt lgkmcnt(0)
	s_barrier
	buffer_gl0_inv
	v_add_nc_u32_e32 v93, 0x800, v90
	ds_read_b64 v[85:86], v89
	ds_read_b64 v[87:88], v90 offset:3640
	ds_read2_b64 v[56:59], v90 offset0:117 offset1:169
	ds_read2_b64 v[64:67], v93 offset0:30 offset1:82
	;; [unrolled: 1-line block ×5, first 2 shown]
	s_and_saveexec_b32 s1, s0
	s_cbranch_execz .LBB0_14
; %bb.13:
	v_add_nc_u32_e32 v0, 0x400, v90
	ds_read2_b64 v[52:55], v0 offset0:28 offset1:197
	ds_read_b64 v[83:84], v90 offset:3952
.LBB0_14:
	s_or_b32 exec_lo, exec_lo, s1
	v_add_f64 v[0:1], v[50:51], v[2:3]
	v_add_f64 v[4:5], v[48:49], -v[4:5]
	v_add_f64 v[8:9], v[44:45], -v[8:9]
	v_add_f64 v[44:45], v[6:7], v[50:51]
	v_add_f64 v[12:13], v[36:37], -v[12:13]
	v_add_f64 v[36:37], v[10:11], v[46:47]
	v_add_f64 v[24:25], v[28:29], -v[24:25]
	v_add_f64 v[16:17], v[40:41], -v[16:17]
	v_add_f64 v[40:41], v[22:23], v[34:35]
	v_add_f64 v[20:21], v[32:33], -v[20:21]
	v_add_f64 v[32:33], v[26:27], v[30:31]
	v_add_f64 v[48:49], v[18:19], v[42:43]
	s_waitcnt lgkmcnt(0)
	s_barrier
	buffer_gl0_inv
	v_add_f64 v[0:1], v[46:47], v[0:1]
	v_add_f64 v[46:47], v[14:15], v[38:39]
	v_mul_f64 v[28:29], v[4:5], s[44:45]
	v_mul_f64 v[50:51], v[4:5], s[38:39]
	;; [unrolled: 1-line block ×20, first 2 shown]
	v_add_f64 v[0:1], v[38:39], v[0:1]
	v_mul_f64 v[38:39], v[4:5], s[42:43]
	v_mul_f64 v[4:5], v[4:5], s[40:41]
	v_fma_f64 v[146:147], v[44:45], s[18:19], v[28:29]
	v_fma_f64 v[150:151], v[44:45], s[14:15], v[50:51]
	;; [unrolled: 1-line block ×3, first 2 shown]
	v_fma_f64 v[96:97], v[44:45], s[16:17], -v[96:97]
	v_fma_f64 v[50:51], v[44:45], s[14:15], -v[50:51]
	;; [unrolled: 1-line block ×3, first 2 shown]
	v_fma_f64 v[156:157], v[36:37], s[6:7], v[100:101]
	v_fma_f64 v[100:101], v[36:37], s[6:7], -v[100:101]
	v_fma_f64 v[158:159], v[36:37], s[20:21], v[102:103]
	v_fma_f64 v[102:103], v[36:37], s[20:21], -v[102:103]
	v_fma_f64 v[160:161], v[36:37], s[16:17], v[104:105]
	v_fma_f64 v[104:105], v[36:37], s[16:17], -v[104:105]
	v_fma_f64 v[162:163], v[36:37], s[14:15], v[106:107]
	v_fma_f64 v[106:107], v[36:37], s[14:15], -v[106:107]
	v_fma_f64 v[164:165], v[36:37], s[18:19], v[8:9]
	v_fma_f64 v[8:9], v[36:37], s[18:19], -v[8:9]
	v_fma_f64 v[166:167], v[46:47], s[20:21], v[110:111]
	v_fma_f64 v[168:169], v[46:47], s[18:19], v[114:115]
	v_fma_f64 v[114:115], v[46:47], s[18:19], -v[114:115]
	v_add_f64 v[0:1], v[42:43], v[0:1]
	v_fma_f64 v[148:149], v[44:45], s[4:5], v[38:39]
	v_fma_f64 v[38:39], v[44:45], s[4:5], -v[38:39]
	v_fma_f64 v[154:155], v[44:45], s[20:21], v[4:5]
	v_fma_f64 v[4:5], v[44:45], s[20:21], -v[4:5]
	;; [unrolled: 2-line block ×4, first 2 shown]
	v_add_f64 v[96:97], v[2:3], v[96:97]
	v_add_f64 v[50:51], v[2:3], v[50:51]
	v_mul_f64 v[42:43], v[16:17], s[38:39]
	v_mul_f64 v[16:17], v[16:17], s[8:9]
	;; [unrolled: 1-line block ×7, first 2 shown]
	v_fma_f64 v[176:177], v[48:49], s[20:21], v[124:125]
	v_mul_f64 v[20:21], v[20:21], s[24:25]
	v_mul_f64 v[136:137], v[24:25], s[40:41]
	;; [unrolled: 1-line block ×3, first 2 shown]
	v_add_f64 v[0:1], v[34:35], v[0:1]
	v_fma_f64 v[34:35], v[44:45], s[6:7], v[94:95]
	v_fma_f64 v[94:95], v[44:45], s[6:7], -v[94:95]
	v_fma_f64 v[44:45], v[36:37], s[4:5], v[98:99]
	v_fma_f64 v[98:99], v[36:37], s[4:5], -v[98:99]
	;; [unrolled: 2-line block ×3, first 2 shown]
	v_add_f64 v[38:39], v[2:3], v[38:39]
	v_add_f64 v[4:5], v[2:3], v[4:5]
	v_mul_f64 v[140:141], v[24:25], s[26:27]
	v_add_f64 v[50:51], v[102:103], v[50:51]
	v_fma_f64 v[174:175], v[48:49], s[14:15], v[42:43]
	v_fma_f64 v[42:43], v[48:49], s[14:15], -v[42:43]
	v_mul_f64 v[142:143], v[24:25], s[8:9]
	v_mul_f64 v[144:145], v[24:25], s[24:25]
	;; [unrolled: 1-line block ×3, first 2 shown]
	v_fma_f64 v[102:103], v[40:41], s[14:15], v[128:129]
	v_add_f64 v[0:1], v[30:31], v[0:1]
	v_fma_f64 v[30:31], v[46:47], s[20:21], -v[110:111]
	v_fma_f64 v[110:111], v[46:47], s[6:7], v[112:113]
	v_fma_f64 v[112:113], v[46:47], s[6:7], -v[112:113]
	v_add_f64 v[46:47], v[2:3], v[146:147]
	v_add_f64 v[146:147], v[2:3], v[148:149]
	;; [unrolled: 1-line block ×11, first 2 shown]
	v_fma_f64 v[28:29], v[48:49], s[6:7], -v[118:119]
	v_fma_f64 v[154:155], v[48:49], s[18:19], v[122:123]
	v_fma_f64 v[96:97], v[48:49], s[4:5], v[16:17]
	v_fma_f64 v[16:17], v[48:49], s[4:5], -v[16:17]
	v_fma_f64 v[122:123], v[48:49], s[18:19], -v[122:123]
	;; [unrolled: 1-line block ×3, first 2 shown]
	v_add_f64 v[0:1], v[26:27], v[0:1]
	v_fma_f64 v[26:27], v[48:49], s[6:7], v[118:119]
	v_fma_f64 v[118:119], v[48:49], s[16:17], v[120:121]
	v_fma_f64 v[120:121], v[48:49], s[16:17], -v[120:121]
	v_add_f64 v[44:45], v[44:45], v[46:47]
	v_add_f64 v[46:47], v[156:157], v[146:147]
	v_add_f64 v[100:101], v[158:159], v[148:149]
	v_add_f64 v[34:35], v[160:161], v[34:35]
	v_add_f64 v[94:95], v[104:105], v[94:95]
	v_add_f64 v[104:105], v[162:163], v[150:151]
	v_add_f64 v[146:147], v[164:165], v[152:153]
	v_add_f64 v[2:3], v[98:99], v[2:3]
	v_add_f64 v[30:31], v[30:31], v[38:39]
	v_add_f64 v[4:5], v[12:13], v[4:5]
	v_add_f64 v[8:9], v[116:117], v[8:9]
	v_add_f64 v[12:13], v[112:113], v[50:51]
	v_fma_f64 v[50:51], v[40:41], s[20:21], -v[132:133]
	v_fma_f64 v[98:99], v[40:41], s[16:17], -v[126:127]
	;; [unrolled: 1-line block ×3, first 2 shown]
	v_fma_f64 v[116:117], v[32:33], s[14:15], v[24:25]
	v_fma_f64 v[24:25], v[32:33], s[14:15], -v[24:25]
	v_add_f64 v[0:1], v[22:23], v[0:1]
	v_fma_f64 v[22:23], v[48:49], s[20:21], -v[124:125]
	v_fma_f64 v[48:49], v[40:41], s[16:17], v[126:127]
	v_fma_f64 v[124:125], v[40:41], s[4:5], v[130:131]
	v_add_f64 v[36:37], v[36:37], v[44:45]
	v_add_f64 v[44:45], v[166:167], v[46:47]
	;; [unrolled: 1-line block ×8, first 2 shown]
	v_fma_f64 v[104:105], v[40:41], s[18:19], v[134:135]
	v_add_f64 v[30:31], v[120:121], v[30:31]
	v_fma_f64 v[110:111], v[40:41], s[6:7], v[20:21]
	v_fma_f64 v[20:21], v[40:41], s[6:7], -v[20:21]
	v_add_f64 v[4:5], v[16:17], v[4:5]
	v_fma_f64 v[108:109], v[40:41], s[18:19], -v[134:135]
	v_fma_f64 v[126:127], v[40:41], s[4:5], -v[130:131]
	v_add_f64 v[12:13], v[122:123], v[12:13]
	v_fma_f64 v[114:115], v[32:33], s[18:19], v[138:139]
	v_fma_f64 v[16:17], v[32:33], s[16:17], v[140:141]
	v_add_f64 v[0:1], v[18:19], v[0:1]
	v_fma_f64 v[18:19], v[40:41], s[20:21], v[132:133]
	v_add_f64 v[8:9], v[22:23], v[8:9]
	;; [unrolled: 2-line block ×3, first 2 shown]
	v_add_f64 v[36:37], v[118:119], v[44:45]
	v_add_f64 v[38:39], v[154:155], v[38:39]
	;; [unrolled: 1-line block ×7, first 2 shown]
	v_fma_f64 v[22:23], v[32:33], s[16:17], -v[140:141]
	v_fma_f64 v[28:29], v[32:33], s[4:5], v[142:143]
	v_fma_f64 v[94:95], v[32:33], s[4:5], -v[142:143]
	v_fma_f64 v[96:97], v[32:33], s[6:7], v[144:145]
	v_fma_f64 v[100:101], v[32:33], s[6:7], -v[144:145]
	v_add_f64 v[30:31], v[106:107], v[30:31]
	v_add_f64 v[4:5], v[20:21], v[4:5]
	;; [unrolled: 1-line block ×4, first 2 shown]
	v_fma_f64 v[14:15], v[32:33], s[18:19], -v[138:139]
	v_add_f64 v[8:9], v[108:109], v[8:9]
	v_add_f64 v[26:27], v[48:49], v[26:27]
	v_add_f64 v[32:33], v[102:103], v[36:37]
	v_add_f64 v[36:37], v[124:125], v[38:39]
	v_add_f64 v[18:19], v[18:19], v[34:35]
	v_add_f64 v[34:35], v[50:51], v[42:43]
	v_add_f64 v[38:39], v[104:105], v[44:45]
	v_add_f64 v[42:43], v[110:111], v[46:47]
	v_add_f64 v[2:3], v[98:99], v[2:3]
	v_add_f64 v[4:5], v[24:25], v[4:5]
	v_add_f64 v[12:13], v[22:23], v[12:13]
	v_add_f64 v[10:11], v[10:11], v[0:1]
	v_add_f64 v[14:15], v[14:15], v[30:31]
	v_add_f64 v[8:9], v[100:101], v[8:9]
	v_add_f64 v[20:21], v[40:41], v[26:27]
	v_add_f64 v[26:27], v[114:115], v[32:33]
	v_add_f64 v[16:17], v[16:17], v[36:37]
	v_add_f64 v[18:19], v[28:29], v[18:19]
	v_add_f64 v[28:29], v[94:95], v[34:35]
	v_add_f64 v[30:31], v[96:97], v[38:39]
	v_add_f64 v[32:33], v[116:117], v[42:43]
	v_add_f64 v[0:1], v[112:113], v[2:3]
	v_add_f64 v[2:3], v[6:7], v[10:11]
	ds_write2_b64 v92, v[26:27], v[16:17] offset0:2 offset1:3
	ds_write2_b64 v92, v[18:19], v[30:31] offset0:4 offset1:5
	;; [unrolled: 1-line block ×5, first 2 shown]
	ds_write_b64 v92, v[0:1] offset:96
	ds_write2_b64 v92, v[2:3], v[20:21] offset1:1
	s_waitcnt lgkmcnt(0)
	s_barrier
	buffer_gl0_inv
	ds_read2_b64 v[4:7], v90 offset0:117 offset1:169
	ds_read2_b64 v[12:15], v93 offset0:30 offset1:82
	;; [unrolled: 1-line block ×5, first 2 shown]
	ds_read_b64 v[24:25], v89
	ds_read_b64 v[28:29], v90 offset:3640
                                        ; implicit-def: $vgpr26_vgpr27
	s_and_saveexec_b32 s1, s0
	s_cbranch_execz .LBB0_16
; %bb.15:
	v_add_nc_u32_e32 v0, 0x400, v90
	ds_read2_b64 v[0:3], v0 offset0:28 offset1:197
	ds_read_b64 v[26:27], v90 offset:3952
.LBB0_16:
	s_or_b32 exec_lo, exec_lo, s1
	v_add_nc_u16 v30, v82, 39
	v_and_b32_e32 v32, 0xff, v82
	v_add_nc_u16 v31, v82, 0x4e
	v_add_nc_u16 v33, v82, 0x75
	s_mov_b32 s4, 0xe8584caa
	v_and_b32_e32 v34, 0xff, v30
	v_mul_lo_u16 v32, 0x4f, v32
	v_and_b32_e32 v35, 0xff, v31
	v_and_b32_e32 v36, 0xff, v33
	s_mov_b32 s5, 0x3febb67a
	v_mul_lo_u16 v34, 0x4f, v34
	v_lshrrev_b16 v135, 10, v32
	v_mul_lo_u16 v35, 0x4f, v35
	v_mul_lo_u16 v32, 0x4f, v36
	s_mov_b32 s7, 0xbfebb67a
	v_lshrrev_b16 v136, 10, v34
	v_mul_lo_u16 v34, v135, 13
	v_lshrrev_b16 v137, 10, v35
	v_mov_b32_e32 v35, 5
	v_lshrrev_b16 v138, 10, v32
	v_mul_lo_u16 v32, v136, 13
	v_sub_nc_u16 v139, v82, v34
	v_mul_lo_u16 v36, v137, 13
	s_mov_b32 s6, s4
	v_mul_lo_u16 v34, v138, 13
	v_sub_nc_u16 v140, v30, v32
	v_lshlrev_b32_sdwa v30, v35, v139 dst_sel:DWORD dst_unused:UNUSED_PAD src0_sel:DWORD src1_sel:BYTE_0
	v_sub_nc_u16 v141, v31, v36
	s_clause 0x1
	global_load_dwordx4 v[48:51], v30, s[12:13] offset:16
	global_load_dwordx4 v[93:96], v30, s[12:13]
	v_sub_nc_u16 v142, v33, v34
	v_lshlrev_b32_sdwa v31, v35, v140 dst_sel:DWORD dst_unused:UNUSED_PAD src0_sel:DWORD src1_sel:BYTE_0
	v_lshlrev_b32_sdwa v32, v35, v141 dst_sel:DWORD dst_unused:UNUSED_PAD src0_sel:DWORD src1_sel:BYTE_0
	v_lshlrev_b32_sdwa v30, v35, v142 dst_sel:DWORD dst_unused:UNUSED_PAD src0_sel:DWORD src1_sel:BYTE_0
	s_clause 0x5
	global_load_dwordx4 v[97:100], v31, s[12:13]
	global_load_dwordx4 v[101:104], v31, s[12:13] offset:16
	global_load_dwordx4 v[105:108], v32, s[12:13]
	global_load_dwordx4 v[109:112], v32, s[12:13] offset:16
	;; [unrolled: 2-line block ×3, first 2 shown]
	v_add_nc_u16 v30, v82, 0x9c
	v_and_b32_e32 v31, 0xff, v30
	v_mul_lo_u16 v31, 0x4f, v31
	v_lshrrev_b16 v31, 10, v31
	v_mul_lo_u16 v31, v31, 13
	v_sub_nc_u16 v92, v30, v31
	v_lshlrev_b32_sdwa v30, v35, v92 dst_sel:DWORD dst_unused:UNUSED_PAD src0_sel:DWORD src1_sel:BYTE_0
	s_clause 0x1
	global_load_dwordx4 v[121:124], v30, s[12:13]
	global_load_dwordx4 v[125:128], v30, s[12:13] offset:16
	s_waitcnt vmcnt(0) lgkmcnt(0)
	s_barrier
	buffer_gl0_inv
	v_mul_f64 v[32:33], v[14:15], v[50:51]
	v_mul_f64 v[30:31], v[6:7], v[95:96]
	;; [unrolled: 1-line block ×16, first 2 shown]
	v_fma_f64 v[42:43], v[66:67], v[48:49], -v[32:33]
	v_fma_f64 v[38:39], v[58:59], v[93:94], -v[30:31]
	v_mov_b32_e32 v58, 3
	v_fma_f64 v[40:41], v[68:69], v[97:98], -v[34:35]
	v_fma_f64 v[44:45], v[72:73], v[101:102], -v[36:37]
	;; [unrolled: 1-line block ×6, first 2 shown]
	v_fma_f64 v[46:47], v[6:7], v[93:94], v[95:96]
	v_fma_f64 v[6:7], v[14:15], v[48:49], v[50:51]
	;; [unrolled: 1-line block ×8, first 2 shown]
	v_and_b32_e32 v103, 0xffff, v135
	v_lshlrev_b32_e32 v59, 3, v91
	v_and_b32_e32 v104, 0xffff, v137
	v_and_b32_e32 v105, 0xffff, v138
	v_mul_f64 v[66:67], v[2:3], v[123:124]
	v_mul_f64 v[68:69], v[54:55], v[123:124]
	v_add_f64 v[48:49], v[38:39], v[42:43]
	v_mul_f64 v[70:71], v[26:27], v[127:128]
	v_add_f64 v[72:73], v[85:86], v[38:39]
	v_add_f64 v[50:51], v[40:41], v[44:45]
	v_mul_f64 v[101:102], v[83:84], v[127:128]
	v_add_f64 v[64:65], v[30:31], v[34:35]
	v_add_f64 v[87:88], v[60:61], v[40:41]
	v_add_f64 v[28:29], v[32:33], v[36:37]
	v_add_f64 v[93:94], v[62:63], v[30:31]
	v_add_f64 v[74:75], v[46:47], -v[6:7]
	v_add_f64 v[95:96], v[56:57], v[32:33]
	v_add_f64 v[97:98], v[20:21], -v[14:15]
	v_mad_u32_u24 v91, 0x138, v103, 0
	v_add_f64 v[99:100], v[22:23], -v[16:17]
	v_and_b32_e32 v103, 0xffff, v136
	v_lshlrev_b32_sdwa v106, v58, v139 dst_sel:DWORD dst_unused:UNUSED_PAD src0_sel:DWORD src1_sel:BYTE_0
	v_fma_f64 v[85:86], v[48:49], -0.5, v[85:86]
	v_fma_f64 v[48:49], v[54:55], v[121:122], -v[66:67]
	v_fma_f64 v[60:61], v[50:51], -0.5, v[60:61]
	v_fma_f64 v[50:51], v[83:84], v[125:126], -v[70:71]
	v_fma_f64 v[62:63], v[64:65], -0.5, v[62:63]
	v_add_f64 v[64:65], v[12:13], -v[18:19]
	v_fma_f64 v[56:57], v[28:29], -0.5, v[56:57]
	v_fma_f64 v[28:29], v[2:3], v[121:122], v[68:69]
	v_add_f64 v[2:3], v[72:73], v[42:43]
	v_fma_f64 v[26:27], v[26:27], v[125:126], v[101:102]
	v_add_f64 v[54:55], v[87:88], v[44:45]
	v_add_f64 v[66:67], v[93:94], v[34:35]
	;; [unrolled: 1-line block ×3, first 2 shown]
	v_fma_f64 v[70:71], v[74:75], s[4:5], v[85:86]
	v_fma_f64 v[72:73], v[74:75], s[6:7], v[85:86]
	;; [unrolled: 1-line block ×8, first 2 shown]
	v_mad_u32_u24 v61, 0x138, v103, 0
	v_mad_u32_u24 v62, 0x138, v104, 0
	;; [unrolled: 1-line block ×3, first 2 shown]
	v_add3_u32 v60, v91, v106, v59
	v_lshlrev_b32_sdwa v63, v58, v140 dst_sel:DWORD dst_unused:UNUSED_PAD src0_sel:DWORD src1_sel:BYTE_0
	v_lshlrev_b32_sdwa v65, v58, v141 dst_sel:DWORD dst_unused:UNUSED_PAD src0_sel:DWORD src1_sel:BYTE_0
	;; [unrolled: 1-line block ×3, first 2 shown]
	v_add3_u32 v63, v61, v63, v59
	v_add3_u32 v62, v62, v65, v59
	;; [unrolled: 1-line block ×3, first 2 shown]
	ds_write2_b64 v60, v[2:3], v[70:71] offset1:13
	ds_write_b64 v60, v[72:73] offset:208
	ds_write2_b64 v63, v[54:55], v[74:75] offset1:13
	ds_write_b64 v63, v[83:84] offset:208
	;; [unrolled: 2-line block ×4, first 2 shown]
	s_and_saveexec_b32 s1, s0
	s_cbranch_execz .LBB0_18
; %bb.17:
	v_add_f64 v[2:3], v[48:49], v[50:51]
	v_add_f64 v[54:55], v[28:29], -v[26:27]
	v_add_f64 v[56:57], v[52:53], v[48:49]
	v_fma_f64 v[2:3], v[2:3], -0.5, v[52:53]
	v_add_f64 v[52:53], v[56:57], v[50:51]
	v_fma_f64 v[56:57], v[54:55], s[4:5], v[2:3]
	v_fma_f64 v[2:3], v[54:55], s[6:7], v[2:3]
	v_lshlrev_b32_sdwa v54, v58, v92 dst_sel:DWORD dst_unused:UNUSED_PAD src0_sel:DWORD src1_sel:BYTE_0
	v_add3_u32 v54, 0, v54, v59
	v_add_nc_u32_e32 v55, 0x800, v54
	ds_write2_b64 v55, v[52:53], v[56:57] offset0:212 offset1:225
	ds_write_b64 v54, v[2:3] offset:3952
.LBB0_18:
	s_or_b32 exec_lo, exec_lo, s1
	v_add_f64 v[2:3], v[46:47], v[6:7]
	v_add_f64 v[52:53], v[20:21], v[14:15]
	;; [unrolled: 1-line block ×5, first 2 shown]
	v_add_f64 v[38:39], v[38:39], -v[42:43]
	v_add_f64 v[20:21], v[8:9], v[20:21]
	v_add_f64 v[40:41], v[40:41], -v[44:45]
	v_add_f64 v[42:43], v[10:11], v[22:23]
	v_add_f64 v[44:45], v[4:5], v[12:13]
	v_add_f64 v[30:31], v[30:31], -v[34:35]
	v_add_f64 v[32:33], v[32:33], -v[36:37]
	s_waitcnt lgkmcnt(0)
	s_barrier
	buffer_gl0_inv
	v_fma_f64 v[24:25], v[2:3], -0.5, v[24:25]
	v_fma_f64 v[8:9], v[52:53], -0.5, v[8:9]
	;; [unrolled: 1-line block ×4, first 2 shown]
	v_lshlrev_b32_e32 v2, 3, v82
	v_add_f64 v[46:47], v[46:47], v[6:7]
	v_add_f64 v[52:53], v[20:21], v[14:15]
	;; [unrolled: 1-line block ×3, first 2 shown]
	v_add3_u32 v58, 0, v2, v59
	ds_read2_b64 v[2:5], v90 offset0:39 offset1:78
	ds_read2_b64 v[10:13], v58 offset0:156 offset1:195
	v_add_nc_u32_e32 v68, 0x400, v58
	v_add_nc_u32_e32 v69, 0x800, v58
	ds_read_b64 v[22:23], v89
	ds_read_b64 v[54:55], v90 offset:936
	ds_read_b64 v[56:57], v58 offset:3744
	v_add_f64 v[44:45], v[44:45], v[18:19]
	v_fma_f64 v[64:65], v[38:39], s[6:7], v[24:25]
	v_fma_f64 v[24:25], v[38:39], s[4:5], v[24:25]
	;; [unrolled: 1-line block ×4, first 2 shown]
	ds_read2_b64 v[18:21], v68 offset0:106 offset1:145
	ds_read2_b64 v[14:17], v69 offset0:56 offset1:95
	;; [unrolled: 1-line block ×3, first 2 shown]
	v_fma_f64 v[66:67], v[30:31], s[6:7], v[34:35]
	v_fma_f64 v[30:31], v[30:31], s[4:5], v[34:35]
	;; [unrolled: 1-line block ×4, first 2 shown]
	s_waitcnt lgkmcnt(0)
	s_barrier
	buffer_gl0_inv
	ds_write2_b64 v60, v[46:47], v[64:65] offset1:13
	ds_write_b64 v60, v[24:25] offset:208
	ds_write2_b64 v63, v[52:53], v[38:39] offset1:13
	ds_write_b64 v63, v[40:41] offset:208
	;; [unrolled: 2-line block ×4, first 2 shown]
	s_and_saveexec_b32 s1, s0
	s_cbranch_execz .LBB0_20
; %bb.19:
	v_add_f64 v[24:25], v[28:29], v[26:27]
	v_add_f64 v[30:31], v[48:49], -v[50:51]
	s_mov_b32 s5, 0xbfebb67a
	s_mov_b32 s4, 0xe8584caa
	v_fma_f64 v[24:25], v[24:25], -0.5, v[0:1]
	v_add_f64 v[0:1], v[0:1], v[28:29]
	v_fma_f64 v[28:29], v[30:31], s[4:5], v[24:25]
	s_mov_b32 s5, 0x3febb67a
	v_add_f64 v[0:1], v[0:1], v[26:27]
	v_fma_f64 v[24:25], v[30:31], s[4:5], v[24:25]
	v_mov_b32_e32 v26, 3
	v_lshlrev_b32_sdwa v26, v26, v92 dst_sel:DWORD dst_unused:UNUSED_PAD src0_sel:DWORD src1_sel:BYTE_0
	v_add3_u32 v26, 0, v26, v59
	v_add_nc_u32_e32 v27, 0x800, v26
	ds_write2_b64 v27, v[0:1], v[28:29] offset0:212 offset1:225
	ds_write_b64 v26, v[24:25] offset:3952
.LBB0_20:
	s_or_b32 exec_lo, exec_lo, s1
	s_waitcnt lgkmcnt(0)
	s_barrier
	buffer_gl0_inv
	s_and_saveexec_b32 s0, vcc_lo
	s_cbranch_execz .LBB0_22
; %bb.21:
	v_mul_u32_u24_e32 v0, 12, v82
	s_mov_b32 s0, 0x93053d00
	s_mov_b32 s1, 0xbfef11f4
	;; [unrolled: 1-line block ×4, first 2 shown]
	v_lshlrev_b32_e32 v52, 4, v0
	v_add_nc_u32_e32 v0, 0x400, v58
	s_mov_b32 s7, 0x3fec55a7
	s_mov_b32 s5, 0x3fcea1e5
	;; [unrolled: 1-line block ×3, first 2 shown]
	s_clause 0x1
	global_load_dwordx4 v[26:29], v52, s[12:13] offset:496
	global_load_dwordx4 v[30:33], v52, s[12:13] offset:512
	ds_read2_b64 v[34:37], v0 offset0:106 offset1:145
	s_clause 0x1
	global_load_dwordx4 v[38:41], v52, s[12:13] offset:480
	global_load_dwordx4 v[42:45], v52, s[12:13] offset:528
	s_mov_b32 s14, s4
	s_mov_b32 s18, 0x4267c47c
	;; [unrolled: 1-line block ×27, first 2 shown]
	global_load_dwordx4 v[64:67], v52, s[12:13] offset:448
	s_waitcnt vmcnt(4)
	v_mul_f64 v[0:1], v[18:19], v[28:29]
	s_waitcnt lgkmcnt(0)
	v_mul_f64 v[28:29], v[34:35], v[28:29]
	v_fma_f64 v[24:25], v[34:35], v[26:27], v[0:1]
	s_waitcnt vmcnt(3)
	v_mul_f64 v[0:1], v[20:21], v[32:33]
	v_fma_f64 v[18:19], v[18:19], v[26:27], -v[28:29]
	v_mul_f64 v[28:29], v[36:37], v[32:33]
	v_fma_f64 v[26:27], v[36:37], v[30:31], v[0:1]
	global_load_dwordx4 v[34:37], v52, s[12:13] offset:464
	s_waitcnt vmcnt(3)
	v_mul_f64 v[0:1], v[12:13], v[40:41]
	v_fma_f64 v[20:21], v[20:21], v[30:31], -v[28:29]
	ds_read2_b64 v[30:33], v58 offset0:156 offset1:195
	v_add_f64 v[114:115], v[24:25], v[26:27]
	v_add_f64 v[116:117], v[24:25], -v[26:27]
	s_waitcnt lgkmcnt(0)
	v_fma_f64 v[28:29], v[32:33], v[38:39], v[0:1]
	v_mul_f64 v[40:41], v[32:33], v[40:41]
	v_add_f64 v[92:93], v[18:19], -v[20:21]
	v_add_f64 v[94:95], v[18:19], v[20:21]
	v_mul_f64 v[138:139], v[114:115], s[28:29]
	v_mul_f64 v[140:141], v[116:117], s[34:35]
	;; [unrolled: 1-line block ×3, first 2 shown]
	v_fma_f64 v[12:13], v[12:13], v[38:39], -v[40:41]
	v_mul_f64 v[164:165], v[116:117], s[38:39]
	v_mul_f64 v[188:189], v[116:117], s[22:23]
	s_waitcnt vmcnt(0)
	v_mul_f64 v[0:1], v[10:11], v[36:37]
	v_fma_f64 v[32:33], v[30:31], v[34:35], v[0:1]
	v_mul_f64 v[0:1], v[30:31], v[36:37]
	v_fma_f64 v[34:35], v[10:11], v[34:35], -v[0:1]
	v_add_nc_u32_e32 v10, 0x800, v58
	v_mul_f64 v[0:1], v[14:15], v[44:45]
	ds_read2_b64 v[36:39], v10 offset0:56 offset1:95
	s_waitcnt lgkmcnt(0)
	v_fma_f64 v[30:31], v[36:37], v[42:43], v[0:1]
	v_mul_f64 v[0:1], v[36:37], v[44:45]
	v_add_f64 v[110:111], v[28:29], v[30:31]
	v_fma_f64 v[14:15], v[14:15], v[42:43], -v[0:1]
	s_clause 0x1
	global_load_dwordx4 v[40:43], v52, s[12:13] offset:544
	global_load_dwordx4 v[44:47], v52, s[12:13] offset:560
	ds_read2_b64 v[48:51], v10 offset0:134 offset1:173
	v_add_f64 v[112:113], v[28:29], -v[30:31]
	v_mul_f64 v[134:135], v[110:111], s[24:25]
	v_mul_f64 v[158:159], v[110:111], s[6:7]
	;; [unrolled: 1-line block ×4, first 2 shown]
	s_waitcnt vmcnt(1)
	v_mul_f64 v[0:1], v[16:17], v[42:43]
	v_fma_f64 v[36:37], v[38:39], v[40:41], v[0:1]
	v_mul_f64 v[0:1], v[38:39], v[42:43]
	v_add_f64 v[106:107], v[32:33], v[36:37]
	v_fma_f64 v[16:17], v[16:17], v[40:41], -v[0:1]
	s_waitcnt vmcnt(0)
	v_mul_f64 v[0:1], v[6:7], v[46:47]
	v_add_f64 v[108:109], v[32:33], -v[36:37]
	v_mul_f64 v[130:131], v[106:107], s[20:21]
	v_add_f64 v[82:83], v[34:35], -v[16:17]
	s_waitcnt lgkmcnt(0)
	v_fma_f64 v[38:39], v[48:49], v[44:45], v[0:1]
	v_mul_f64 v[0:1], v[48:49], v[46:47]
	v_add_f64 v[86:87], v[34:35], v[16:17]
	v_mul_f64 v[132:133], v[108:109], s[22:23]
	v_mul_f64 v[154:155], v[106:107], s[0:1]
	;; [unrolled: 1-line block ×3, first 2 shown]
	v_fma_f64 v[40:41], v[6:7], v[44:45], -v[0:1]
	s_clause 0x1
	global_load_dwordx4 v[44:47], v52, s[12:13] offset:576
	global_load_dwordx4 v[68:71], v52, s[12:13] offset:592
	s_waitcnt vmcnt(1)
	v_mul_f64 v[0:1], v[8:9], v[46:47]
	v_fma_f64 v[42:43], v[50:51], v[44:45], v[0:1]
	v_mul_f64 v[0:1], v[50:51], v[46:47]
	v_fma_f64 v[44:45], v[8:9], v[44:45], -v[0:1]
	s_clause 0x1
	global_load_dwordx4 v[6:9], v52, s[12:13] offset:432
	global_load_dwordx4 v[59:62], v52, s[12:13] offset:416
	ds_read2_b64 v[72:75], v90 offset0:39 offset1:78
	s_mov_b32 s12, 0xd0032e0c
	s_mov_b32 s13, 0xbfe7f3cc
	s_waitcnt vmcnt(1)
	v_mul_f64 v[0:1], v[4:5], v[8:9]
	s_waitcnt lgkmcnt(0)
	v_fma_f64 v[46:47], v[74:75], v[6:7], v[0:1]
	v_mul_f64 v[0:1], v[74:75], v[8:9]
	v_add_f64 v[96:97], v[46:47], v[42:43]
	v_fma_f64 v[48:49], v[4:5], v[6:7], -v[0:1]
	s_waitcnt vmcnt(0)
	v_mul_f64 v[0:1], v[2:3], v[61:62]
	v_mul_f64 v[4:5], v[54:55], v[66:67]
	v_add_f64 v[100:101], v[46:47], -v[42:43]
	v_mul_f64 v[120:121], v[96:97], s[6:7]
	v_mul_f64 v[144:145], v[96:97], s[28:29]
	v_fma_f64 v[50:51], v[72:73], v[59:60], v[0:1]
	v_mul_f64 v[0:1], v[72:73], v[61:62]
	v_mul_f64 v[124:125], v[100:101], s[8:9]
	;; [unrolled: 1-line block ×5, first 2 shown]
	v_fma_f64 v[52:53], v[2:3], v[59:60], -v[0:1]
	ds_read_b64 v[0:1], v58 offset:3744
	ds_read_b64 v[2:3], v90 offset:936
	ds_read_b64 v[62:63], v89
	v_add_f64 v[88:89], v[12:13], -v[14:15]
	v_add_f64 v[90:91], v[12:13], v[14:15]
	s_waitcnt lgkmcnt(1)
	v_fma_f64 v[58:59], v[2:3], v[64:65], v[4:5]
	v_mul_f64 v[2:3], v[2:3], v[66:67]
	v_add_f64 v[66:67], v[48:49], -v[44:45]
	v_add_f64 v[102:103], v[58:59], v[38:39]
	v_fma_f64 v[60:61], v[54:55], v[64:65], -v[2:3]
	v_mul_f64 v[2:3], v[56:57], v[70:71]
	v_add_f64 v[104:105], v[58:59], -v[38:39]
	v_fma_f64 v[6:7], v[66:67], s[34:35], v[144:145]
	v_fma_f64 v[10:11], v[66:67], s[16:17], v[168:169]
	v_mul_f64 v[126:127], v[102:103], s[12:13]
	v_add_f64 v[72:73], v[60:61], -v[40:41]
	v_fma_f64 v[54:55], v[0:1], v[68:69], v[2:3]
	v_mul_f64 v[0:1], v[0:1], v[70:71]
	v_fma_f64 v[2:3], v[66:67], s[8:9], v[120:121]
	v_add_f64 v[70:71], v[48:49], v[44:45]
	v_add_f64 v[74:75], v[60:61], v[40:41]
	v_mul_f64 v[128:129], v[104:105], s[30:31]
	v_fma_f64 v[120:121], v[66:67], s[18:19], v[120:121]
	v_mul_f64 v[148:149], v[102:103], s[20:21]
	v_mul_f64 v[152:153], v[104:105], s[36:37]
	v_add_f64 v[84:85], v[50:51], v[54:55]
	v_fma_f64 v[56:57], v[56:57], v[68:69], -v[0:1]
	v_add_f64 v[98:99], v[50:51], -v[54:55]
	v_fma_f64 v[4:5], v[70:71], s[6:7], -v[124:125]
	v_fma_f64 v[8:9], v[70:71], s[28:29], -v[150:151]
	;; [unrolled: 1-line block ×3, first 2 shown]
	s_waitcnt lgkmcnt(0)
	v_add_f64 v[50:51], v[62:63], v[50:51]
	v_mul_f64 v[118:119], v[84:85], s[0:1]
	v_add_f64 v[64:65], v[52:53], -v[56:57]
	v_add_f64 v[68:69], v[52:53], v[56:57]
	v_mul_f64 v[122:123], v[98:99], s[14:15]
	v_mul_f64 v[142:143], v[84:85], s[12:13]
	;; [unrolled: 1-line block ×5, first 2 shown]
	v_add_f64 v[46:47], v[46:47], v[50:51]
	v_fma_f64 v[0:1], v[64:65], s[14:15], v[118:119]
	v_fma_f64 v[118:119], v[64:65], s[4:5], v[118:119]
	v_add_f64 v[46:47], v[58:59], v[46:47]
	v_add_f64 v[0:1], v[62:63], v[0:1]
	;; [unrolled: 1-line block ×5, first 2 shown]
	v_fma_f64 v[2:3], v[68:69], s[0:1], -v[122:123]
	v_add_f64 v[118:119], v[120:121], v[118:119]
	v_fma_f64 v[120:121], v[68:69], s[0:1], v[122:123]
	v_fma_f64 v[122:123], v[70:71], s[6:7], v[124:125]
	;; [unrolled: 1-line block ×3, first 2 shown]
	v_add_f64 v[28:29], v[28:29], v[32:33]
	v_add_f64 v[2:3], v[22:23], v[2:3]
	;; [unrolled: 1-line block ×4, first 2 shown]
	v_fma_f64 v[4:5], v[72:73], s[30:31], v[126:127]
	v_add_f64 v[120:121], v[122:123], v[120:121]
	v_fma_f64 v[122:123], v[72:73], s[16:17], v[126:127]
	v_fma_f64 v[126:127], v[70:71], s[28:29], v[150:151]
	v_add_f64 v[0:1], v[4:5], v[0:1]
	v_fma_f64 v[4:5], v[74:75], s[12:13], -v[128:129]
	v_add_f64 v[118:119], v[122:123], v[118:119]
	v_fma_f64 v[122:123], v[74:75], s[12:13], v[128:129]
	v_fma_f64 v[128:129], v[94:95], s[24:25], v[164:165]
	v_add_f64 v[2:3], v[4:5], v[2:3]
	v_fma_f64 v[4:5], v[82:83], s[22:23], v[130:131]
	v_add_f64 v[120:121], v[122:123], v[120:121]
	v_fma_f64 v[122:123], v[82:83], s[36:37], v[130:131]
	v_fma_f64 v[130:131], v[70:71], s[12:13], v[174:175]
	v_add_f64 v[0:1], v[4:5], v[0:1]
	v_fma_f64 v[4:5], v[86:87], s[20:21], -v[132:133]
	v_add_f64 v[118:119], v[122:123], v[118:119]
	v_fma_f64 v[122:123], v[86:87], s[20:21], v[132:133]
	v_fma_f64 v[132:133], v[94:95], s[20:21], v[188:189]
	v_add_f64 v[2:3], v[4:5], v[2:3]
	v_fma_f64 v[4:5], v[88:89], s[38:39], v[134:135]
	v_add_f64 v[120:121], v[122:123], v[120:121]
	v_fma_f64 v[122:123], v[88:89], s[26:27], v[134:135]
	v_mul_f64 v[134:135], v[84:85], s[28:29]
	v_add_f64 v[0:1], v[4:5], v[0:1]
	v_fma_f64 v[4:5], v[90:91], s[24:25], -v[136:137]
	v_add_f64 v[118:119], v[122:123], v[118:119]
	v_fma_f64 v[122:123], v[90:91], s[24:25], v[136:137]
	v_mul_f64 v[136:137], v[96:97], s[0:1]
	v_add_f64 v[4:5], v[4:5], v[2:3]
	v_fma_f64 v[2:3], v[92:93], s[34:35], v[138:139]
	v_add_f64 v[122:123], v[122:123], v[120:121]
	v_fma_f64 v[120:121], v[92:93], s[40:41], v[138:139]
	v_mul_f64 v[138:139], v[98:99], s[40:41]
	v_add_f64 v[2:3], v[2:3], v[0:1]
	v_fma_f64 v[0:1], v[94:95], s[28:29], -v[140:141]
	v_add_f64 v[120:121], v[120:121], v[118:119]
	v_add_f64 v[118:119], v[124:125], v[122:123]
	v_fma_f64 v[122:123], v[64:65], s[16:17], v[142:143]
	v_fma_f64 v[124:125], v[66:67], s[40:41], v[144:145]
	v_mul_f64 v[140:141], v[100:101], s[14:15]
	v_add_f64 v[0:1], v[0:1], v[4:5]
	v_fma_f64 v[4:5], v[64:65], s[30:31], v[142:143]
	v_add_f64 v[122:123], v[62:63], v[122:123]
	v_fma_f64 v[142:143], v[70:71], s[0:1], v[140:141]
	v_add_f64 v[4:5], v[62:63], v[4:5]
	v_add_f64 v[122:123], v[124:125], v[122:123]
	v_fma_f64 v[124:125], v[68:69], s[12:13], v[146:147]
	v_add_f64 v[4:5], v[6:7], v[4:5]
	v_fma_f64 v[6:7], v[68:69], s[12:13], -v[146:147]
	v_add_f64 v[124:125], v[22:23], v[124:125]
	v_add_f64 v[6:7], v[22:23], v[6:7]
	;; [unrolled: 1-line block ×3, first 2 shown]
	v_fma_f64 v[126:127], v[72:73], s[22:23], v[148:149]
	v_add_f64 v[6:7], v[8:9], v[6:7]
	v_fma_f64 v[8:9], v[72:73], s[36:37], v[148:149]
	v_add_f64 v[122:123], v[126:127], v[122:123]
	;; [unrolled: 2-line block ×3, first 2 shown]
	v_fma_f64 v[8:9], v[74:75], s[20:21], -v[152:153]
	v_add_f64 v[124:125], v[126:127], v[124:125]
	v_fma_f64 v[126:127], v[82:83], s[14:15], v[154:155]
	v_add_f64 v[6:7], v[8:9], v[6:7]
	v_fma_f64 v[8:9], v[82:83], s[4:5], v[154:155]
	;; [unrolled: 2-line block ×3, first 2 shown]
	v_add_f64 v[4:5], v[8:9], v[4:5]
	v_fma_f64 v[8:9], v[86:87], s[0:1], -v[156:157]
	v_mul_f64 v[156:157], v[114:115], s[12:13]
	v_add_f64 v[124:125], v[126:127], v[124:125]
	v_fma_f64 v[126:127], v[88:89], s[18:19], v[158:159]
	v_add_f64 v[6:7], v[8:9], v[6:7]
	v_fma_f64 v[8:9], v[88:89], s[8:9], v[158:159]
	v_mul_f64 v[158:159], v[116:117], s[30:31]
	v_add_f64 v[122:123], v[126:127], v[122:123]
	v_fma_f64 v[126:127], v[90:91], s[6:7], v[160:161]
	v_add_f64 v[4:5], v[8:9], v[4:5]
	v_fma_f64 v[8:9], v[90:91], s[6:7], -v[160:161]
	v_add_f64 v[126:127], v[126:127], v[124:125]
	v_fma_f64 v[124:125], v[92:93], s[26:27], v[162:163]
	v_add_f64 v[8:9], v[8:9], v[6:7]
	v_fma_f64 v[6:7], v[92:93], s[38:39], v[162:163]
	v_add_f64 v[124:125], v[124:125], v[122:123]
	v_add_f64 v[122:123], v[128:129], v[126:127]
	v_fma_f64 v[126:127], v[64:65], s[26:27], v[166:167]
	v_fma_f64 v[128:129], v[66:67], s[30:31], v[168:169]
	v_add_f64 v[6:7], v[6:7], v[4:5]
	v_fma_f64 v[4:5], v[94:95], s[24:25], -v[164:165]
	v_mul_f64 v[164:165], v[114:115], s[6:7]
	v_add_f64 v[126:127], v[62:63], v[126:127]
	v_add_f64 v[4:5], v[4:5], v[8:9]
	v_fma_f64 v[8:9], v[64:65], s[38:39], v[166:167]
	v_mul_f64 v[166:167], v[116:117], s[8:9]
	v_add_f64 v[126:127], v[128:129], v[126:127]
	v_fma_f64 v[128:129], v[68:69], s[24:25], v[170:171]
	v_mul_f64 v[116:117], v[116:117], s[14:15]
	v_add_f64 v[8:9], v[62:63], v[8:9]
	v_add_f64 v[128:129], v[22:23], v[128:129]
	;; [unrolled: 1-line block ×3, first 2 shown]
	v_fma_f64 v[10:11], v[68:69], s[24:25], -v[170:171]
	v_add_f64 v[128:129], v[130:131], v[128:129]
	v_add_f64 v[10:11], v[22:23], v[10:11]
	v_add_f64 v[10:11], v[172:173], v[10:11]
	v_mul_f64 v[172:173], v[102:103], s[6:7]
	v_fma_f64 v[176:177], v[72:73], s[8:9], v[172:173]
	v_fma_f64 v[130:131], v[72:73], s[18:19], v[172:173]
	v_add_f64 v[8:9], v[176:177], v[8:9]
	v_mul_f64 v[176:177], v[104:105], s[8:9]
	v_add_f64 v[126:127], v[130:131], v[126:127]
	v_fma_f64 v[178:179], v[74:75], s[6:7], -v[176:177]
	v_fma_f64 v[130:131], v[74:75], s[6:7], v[176:177]
	v_add_f64 v[10:11], v[178:179], v[10:11]
	v_mul_f64 v[178:179], v[106:107], s[28:29]
	v_add_f64 v[128:129], v[130:131], v[128:129]
	v_fma_f64 v[180:181], v[82:83], s[40:41], v[178:179]
	v_fma_f64 v[130:131], v[82:83], s[34:35], v[178:179]
	v_add_f64 v[8:9], v[180:181], v[8:9]
	v_mul_f64 v[180:181], v[108:109], s[40:41]
	v_add_f64 v[126:127], v[130:131], v[126:127]
	v_fma_f64 v[182:183], v[86:87], s[28:29], -v[180:181]
	v_fma_f64 v[130:131], v[86:87], s[28:29], v[180:181]
	v_add_f64 v[10:11], v[182:183], v[10:11]
	v_mul_f64 v[182:183], v[110:111], s[0:1]
	v_add_f64 v[128:129], v[130:131], v[128:129]
	;; [unrolled: 10-line block ×3, first 2 shown]
	v_mul_f64 v[114:115], v[114:115], s[0:1]
	v_fma_f64 v[128:129], v[92:93], s[36:37], v[186:187]
	v_fma_f64 v[10:11], v[92:93], s[22:23], v[186:187]
	v_add_f64 v[128:129], v[128:129], v[126:127]
	v_add_f64 v[126:127], v[132:133], v[130:131]
	v_fma_f64 v[130:131], v[64:65], s[34:35], v[134:135]
	v_fma_f64 v[132:133], v[66:67], s[4:5], v[136:137]
	;; [unrolled: 1-line block ×4, first 2 shown]
	v_add_f64 v[10:11], v[10:11], v[8:9]
	v_fma_f64 v[8:9], v[94:95], s[20:21], -v[188:189]
	v_add_f64 v[130:131], v[62:63], v[130:131]
	v_add_f64 v[134:135], v[62:63], v[134:135]
	;; [unrolled: 1-line block ×4, first 2 shown]
	v_fma_f64 v[132:133], v[68:69], s[28:29], v[138:139]
	v_add_f64 v[134:135], v[136:137], v[134:135]
	v_fma_f64 v[136:137], v[68:69], s[28:29], -v[138:139]
	v_fma_f64 v[138:139], v[70:71], s[0:1], -v[140:141]
	;; [unrolled: 1-line block ×3, first 2 shown]
	v_add_f64 v[132:133], v[22:23], v[132:133]
	v_add_f64 v[136:137], v[22:23], v[136:137]
	;; [unrolled: 1-line block ×3, first 2 shown]
	v_mul_f64 v[142:143], v[102:103], s[24:25]
	v_add_f64 v[136:137], v[138:139], v[136:137]
	v_fma_f64 v[144:145], v[72:73], s[38:39], v[142:143]
	v_fma_f64 v[138:139], v[72:73], s[26:27], v[142:143]
	v_mul_f64 v[142:143], v[84:85], s[20:21]
	v_mul_f64 v[84:85], v[84:85], s[6:7]
	v_add_f64 v[130:131], v[144:145], v[130:131]
	v_mul_f64 v[144:145], v[104:105], s[26:27]
	v_add_f64 v[134:135], v[138:139], v[134:135]
	v_fma_f64 v[146:147], v[74:75], s[24:25], v[144:145]
	v_fma_f64 v[138:139], v[74:75], s[24:25], -v[144:145]
	v_mul_f64 v[144:145], v[96:97], s[24:25]
	v_add_f64 v[132:133], v[146:147], v[132:133]
	v_mul_f64 v[146:147], v[106:107], s[6:7]
	v_add_f64 v[136:137], v[138:139], v[136:137]
	v_fma_f64 v[148:149], v[82:83], s[18:19], v[146:147]
	v_fma_f64 v[138:139], v[82:83], s[8:9], v[146:147]
	v_mul_f64 v[146:147], v[98:99], s[36:37]
	v_add_f64 v[130:131], v[148:149], v[130:131]
	v_mul_f64 v[148:149], v[108:109], s[8:9]
	v_add_f64 v[134:135], v[138:139], v[134:135]
	v_fma_f64 v[150:151], v[86:87], s[6:7], v[148:149]
	v_fma_f64 v[138:139], v[86:87], s[6:7], -v[148:149]
	v_mul_f64 v[148:149], v[100:101], s[38:39]
	v_mul_f64 v[100:101], v[100:101], s[36:37]
	v_add_f64 v[132:133], v[150:151], v[132:133]
	v_mul_f64 v[150:151], v[110:111], s[20:21]
	v_add_f64 v[136:137], v[138:139], v[136:137]
	v_fma_f64 v[152:153], v[88:89], s[22:23], v[150:151]
	v_fma_f64 v[138:139], v[88:89], s[36:37], v[150:151]
	;; [unrolled: 1-line block ×3, first 2 shown]
	v_add_f64 v[130:131], v[152:153], v[130:131]
	v_mul_f64 v[152:153], v[112:113], s[36:37]
	v_add_f64 v[134:135], v[138:139], v[134:135]
	v_fma_f64 v[138:139], v[90:91], s[20:21], -v[152:153]
	v_fma_f64 v[154:155], v[90:91], s[20:21], v[152:153]
	v_add_f64 v[138:139], v[138:139], v[136:137]
	v_fma_f64 v[136:137], v[92:93], s[30:31], v[156:157]
	v_add_f64 v[154:155], v[154:155], v[132:133]
	;; [unrolled: 2-line block ×3, first 2 shown]
	v_add_f64 v[134:135], v[140:141], v[138:139]
	v_fma_f64 v[138:139], v[64:65], s[22:23], v[142:143]
	v_fma_f64 v[140:141], v[66:67], s[26:27], v[144:145]
	v_add_f64 v[132:133], v[132:133], v[130:131]
	v_fma_f64 v[130:131], v[94:95], s[12:13], v[158:159]
	v_fma_f64 v[142:143], v[64:65], s[36:37], v[142:143]
	;; [unrolled: 1-line block ×3, first 2 shown]
	v_add_f64 v[138:139], v[62:63], v[138:139]
	v_add_f64 v[130:131], v[130:131], v[154:155]
	;; [unrolled: 1-line block ×4, first 2 shown]
	v_fma_f64 v[140:141], v[68:69], s[20:21], v[146:147]
	v_add_f64 v[142:143], v[144:145], v[142:143]
	v_fma_f64 v[144:145], v[68:69], s[20:21], -v[146:147]
	v_fma_f64 v[146:147], v[70:71], s[24:25], -v[148:149]
	;; [unrolled: 1-line block ×3, first 2 shown]
	v_add_f64 v[140:141], v[22:23], v[140:141]
	v_add_f64 v[144:145], v[22:23], v[144:145]
	;; [unrolled: 1-line block ×3, first 2 shown]
	v_mul_f64 v[150:151], v[102:103], s[0:1]
	v_mul_f64 v[102:103], v[102:103], s[28:29]
	v_add_f64 v[144:145], v[146:147], v[144:145]
	v_fma_f64 v[152:153], v[72:73], s[4:5], v[150:151]
	v_fma_f64 v[146:147], v[72:73], s[14:15], v[150:151]
	v_fma_f64 v[150:151], v[70:71], s[20:21], -v[100:101]
	v_fma_f64 v[70:71], v[70:71], s[20:21], v[100:101]
	v_add_f64 v[138:139], v[152:153], v[138:139]
	v_mul_f64 v[152:153], v[104:105], s[14:15]
	v_add_f64 v[142:143], v[146:147], v[142:143]
	v_mul_f64 v[104:105], v[104:105], s[40:41]
	v_fma_f64 v[154:155], v[74:75], s[0:1], v[152:153]
	v_fma_f64 v[146:147], v[74:75], s[0:1], -v[152:153]
	v_add_f64 v[140:141], v[154:155], v[140:141]
	v_mul_f64 v[154:155], v[106:107], s[12:13]
	v_add_f64 v[144:145], v[146:147], v[144:145]
	v_mul_f64 v[106:107], v[106:107], s[24:25]
	v_fma_f64 v[156:157], v[82:83], s[30:31], v[154:155]
	v_fma_f64 v[146:147], v[82:83], s[16:17], v[154:155]
	v_add_f64 v[138:139], v[156:157], v[138:139]
	v_mul_f64 v[156:157], v[108:109], s[16:17]
	v_add_f64 v[142:143], v[146:147], v[142:143]
	v_mul_f64 v[108:109], v[108:109], s[38:39]
	v_fma_f64 v[158:159], v[86:87], s[12:13], v[156:157]
	v_fma_f64 v[146:147], v[86:87], s[12:13], -v[156:157]
	v_add_f64 v[140:141], v[158:159], v[140:141]
	v_mul_f64 v[158:159], v[110:111], s[28:29]
	v_add_f64 v[144:145], v[146:147], v[144:145]
	v_mul_f64 v[110:111], v[110:111], s[12:13]
	v_fma_f64 v[160:161], v[88:89], s[40:41], v[158:159]
	v_fma_f64 v[146:147], v[88:89], s[34:35], v[158:159]
	v_add_f64 v[138:139], v[160:161], v[138:139]
	v_mul_f64 v[160:161], v[112:113], s[34:35]
	v_add_f64 v[142:143], v[146:147], v[142:143]
	v_mul_f64 v[112:113], v[112:113], s[30:31]
	v_fma_f64 v[146:147], v[90:91], s[28:29], -v[160:161]
	v_fma_f64 v[162:163], v[90:91], s[28:29], v[160:161]
	v_add_f64 v[146:147], v[146:147], v[144:145]
	v_fma_f64 v[144:145], v[92:93], s[8:9], v[164:165]
	v_add_f64 v[162:163], v[162:163], v[140:141]
	;; [unrolled: 2-line block ×3, first 2 shown]
	v_add_f64 v[142:143], v[148:149], v[146:147]
	v_mul_f64 v[146:147], v[96:97], s[20:21]
	v_fma_f64 v[96:97], v[64:65], s[18:19], v[84:85]
	v_fma_f64 v[64:65], v[64:65], s[8:9], v[84:85]
	v_add_f64 v[140:141], v[140:141], v[138:139]
	v_fma_f64 v[138:139], v[94:95], s[6:7], v[166:167]
	v_fma_f64 v[148:149], v[66:67], s[36:37], v[146:147]
	v_add_f64 v[96:97], v[62:63], v[96:97]
	v_fma_f64 v[66:67], v[66:67], s[22:23], v[146:147]
	v_add_f64 v[64:65], v[62:63], v[64:65]
	v_add_f64 v[138:139], v[138:139], v[162:163]
	;; [unrolled: 1-line block ×3, first 2 shown]
	v_mul_f64 v[148:149], v[98:99], s[18:19]
	v_add_f64 v[64:65], v[66:67], v[64:65]
	v_fma_f64 v[98:99], v[68:69], s[6:7], -v[148:149]
	v_fma_f64 v[68:69], v[68:69], s[6:7], v[148:149]
	v_add_f64 v[98:99], v[22:23], v[98:99]
	v_add_f64 v[66:67], v[22:23], v[68:69]
	;; [unrolled: 1-line block ×3, first 2 shown]
	v_fma_f64 v[68:69], v[82:83], s[26:27], v[106:107]
	v_add_f64 v[98:99], v[150:151], v[98:99]
	v_fma_f64 v[150:151], v[72:73], s[40:41], v[102:103]
	v_add_f64 v[22:23], v[48:49], v[22:23]
	;; [unrolled: 2-line block ×4, first 2 shown]
	v_add_f64 v[22:23], v[60:61], v[22:23]
	v_fma_f64 v[150:151], v[74:75], s[28:29], -v[104:105]
	v_fma_f64 v[74:75], v[74:75], s[28:29], v[104:105]
	v_add_f64 v[64:65], v[72:73], v[64:65]
	v_fma_f64 v[72:73], v[88:89], s[16:17], v[110:111]
	v_add_f64 v[22:23], v[34:35], v[22:23]
	v_add_f64 v[98:99], v[150:151], v[98:99]
	v_fma_f64 v[150:151], v[82:83], s[38:39], v[106:107]
	v_add_f64 v[66:67], v[74:75], v[66:67]
	v_fma_f64 v[74:75], v[90:91], s[12:13], v[112:113]
	;; [unrolled: 2-line block ×3, first 2 shown]
	v_add_f64 v[12:13], v[12:13], v[22:23]
	v_add_f64 v[22:23], v[24:25], v[28:29]
	;; [unrolled: 1-line block ×3, first 2 shown]
	v_fma_f64 v[150:151], v[86:87], s[24:25], -v[108:109]
	v_add_f64 v[66:67], v[70:71], v[66:67]
	v_fma_f64 v[70:71], v[94:95], s[0:1], v[116:117]
	v_add_f64 v[64:65], v[72:73], v[64:65]
	v_add_f64 v[12:13], v[18:19], v[12:13]
	v_add_f64 v[18:19], v[26:27], v[22:23]
	v_add_f64 v[98:99], v[150:151], v[98:99]
	v_fma_f64 v[150:151], v[88:89], s[30:31], v[110:111]
	v_add_f64 v[72:73], v[74:75], v[66:67]
	v_add_f64 v[66:67], v[68:69], v[64:65]
	v_mad_u64_u32 v[68:69], null, s2, v78, 0
	v_add_f64 v[12:13], v[20:21], v[12:13]
	v_add_f64 v[18:19], v[30:31], v[18:19]
	;; [unrolled: 1-line block ×3, first 2 shown]
	v_fma_f64 v[150:151], v[90:91], s[12:13], -v[112:113]
	v_add_f64 v[64:65], v[70:71], v[72:73]
	v_mul_lo_u32 v70, s3, v78
	v_mul_lo_u32 v71, s2, v79
	v_add3_u32 v69, v69, v71, v70
	v_lshlrev_b64 v[68:69], 4, v[68:69]
	v_add_f64 v[12:13], v[14:15], v[12:13]
	v_add_f64 v[14:15], v[36:37], v[18:19]
	;; [unrolled: 1-line block ×3, first 2 shown]
	v_fma_f64 v[98:99], v[92:93], s[14:15], v[114:115]
	v_add_co_u32 v70, vcc_lo, s10, v68
	v_add_co_ci_u32_e32 v71, vcc_lo, s11, v69, vcc_lo
	v_lshlrev_b64 v[68:69], 4, v[76:77]
	v_add_co_u32 v70, vcc_lo, v70, v68
	v_add_co_ci_u32_e32 v71, vcc_lo, v71, v69, vcc_lo
	v_lshlrev_b64 v[68:69], 4, v[80:81]
	v_add_f64 v[12:13], v[16:17], v[12:13]
	v_add_f64 v[14:15], v[38:39], v[14:15]
	v_add_co_u32 v68, vcc_lo, v70, v68
	v_add_f64 v[98:99], v[98:99], v[96:97]
	v_fma_f64 v[96:97], v[94:95], s[0:1], -v[116:117]
	v_add_co_ci_u32_e32 v69, vcc_lo, v71, v69, vcc_lo
	v_add_co_u32 v16, vcc_lo, 0x800, v68
	v_add_co_ci_u32_e32 v17, vcc_lo, 0, v69, vcc_lo
	v_add_co_u32 v18, vcc_lo, 0x1000, v68
	;; [unrolled: 2-line block ×3, first 2 shown]
	v_add_f64 v[12:13], v[40:41], v[12:13]
	v_add_f64 v[14:15], v[42:43], v[14:15]
	v_add_co_ci_u32_e32 v21, vcc_lo, 0, v69, vcc_lo
	v_add_f64 v[96:97], v[96:97], v[150:151]
	v_add_f64 v[12:13], v[44:45], v[12:13]
	;; [unrolled: 1-line block ×4, first 2 shown]
	global_store_dwordx4 v[16:17], v[8:11], off offset:448
	global_store_dwordx4 v[16:17], v[4:7], off offset:1072
	;; [unrolled: 1-line block ×11, first 2 shown]
	global_store_dwordx4 v[68:69], v[12:15], off
	global_store_dwordx4 v[20:21], v[64:67], off offset:1344
.LBB0_22:
	s_endpgm
	.section	.rodata,"a",@progbits
	.p2align	6, 0x0
	.amdhsa_kernel fft_rtc_fwd_len507_factors_13_3_13_wgs_117_tpt_39_halfLds_dp_op_CI_CI_unitstride_sbrr_dirReg
		.amdhsa_group_segment_fixed_size 0
		.amdhsa_private_segment_fixed_size 0
		.amdhsa_kernarg_size 104
		.amdhsa_user_sgpr_count 6
		.amdhsa_user_sgpr_private_segment_buffer 1
		.amdhsa_user_sgpr_dispatch_ptr 0
		.amdhsa_user_sgpr_queue_ptr 0
		.amdhsa_user_sgpr_kernarg_segment_ptr 1
		.amdhsa_user_sgpr_dispatch_id 0
		.amdhsa_user_sgpr_flat_scratch_init 0
		.amdhsa_user_sgpr_private_segment_size 0
		.amdhsa_wavefront_size32 1
		.amdhsa_uses_dynamic_stack 0
		.amdhsa_system_sgpr_private_segment_wavefront_offset 0
		.amdhsa_system_sgpr_workgroup_id_x 1
		.amdhsa_system_sgpr_workgroup_id_y 0
		.amdhsa_system_sgpr_workgroup_id_z 0
		.amdhsa_system_sgpr_workgroup_info 0
		.amdhsa_system_vgpr_workitem_id 0
		.amdhsa_next_free_vgpr 192
		.amdhsa_next_free_sgpr 46
		.amdhsa_reserve_vcc 1
		.amdhsa_reserve_flat_scratch 0
		.amdhsa_float_round_mode_32 0
		.amdhsa_float_round_mode_16_64 0
		.amdhsa_float_denorm_mode_32 3
		.amdhsa_float_denorm_mode_16_64 3
		.amdhsa_dx10_clamp 1
		.amdhsa_ieee_mode 1
		.amdhsa_fp16_overflow 0
		.amdhsa_workgroup_processor_mode 1
		.amdhsa_memory_ordered 1
		.amdhsa_forward_progress 0
		.amdhsa_shared_vgpr_count 0
		.amdhsa_exception_fp_ieee_invalid_op 0
		.amdhsa_exception_fp_denorm_src 0
		.amdhsa_exception_fp_ieee_div_zero 0
		.amdhsa_exception_fp_ieee_overflow 0
		.amdhsa_exception_fp_ieee_underflow 0
		.amdhsa_exception_fp_ieee_inexact 0
		.amdhsa_exception_int_div_zero 0
	.end_amdhsa_kernel
	.text
.Lfunc_end0:
	.size	fft_rtc_fwd_len507_factors_13_3_13_wgs_117_tpt_39_halfLds_dp_op_CI_CI_unitstride_sbrr_dirReg, .Lfunc_end0-fft_rtc_fwd_len507_factors_13_3_13_wgs_117_tpt_39_halfLds_dp_op_CI_CI_unitstride_sbrr_dirReg
                                        ; -- End function
	.section	.AMDGPU.csdata,"",@progbits
; Kernel info:
; codeLenInByte = 11816
; NumSgprs: 48
; NumVgprs: 192
; ScratchSize: 0
; MemoryBound: 1
; FloatMode: 240
; IeeeMode: 1
; LDSByteSize: 0 bytes/workgroup (compile time only)
; SGPRBlocks: 5
; VGPRBlocks: 23
; NumSGPRsForWavesPerEU: 48
; NumVGPRsForWavesPerEU: 192
; Occupancy: 5
; WaveLimiterHint : 1
; COMPUTE_PGM_RSRC2:SCRATCH_EN: 0
; COMPUTE_PGM_RSRC2:USER_SGPR: 6
; COMPUTE_PGM_RSRC2:TRAP_HANDLER: 0
; COMPUTE_PGM_RSRC2:TGID_X_EN: 1
; COMPUTE_PGM_RSRC2:TGID_Y_EN: 0
; COMPUTE_PGM_RSRC2:TGID_Z_EN: 0
; COMPUTE_PGM_RSRC2:TIDIG_COMP_CNT: 0
	.text
	.p2alignl 6, 3214868480
	.fill 48, 4, 3214868480
	.type	__hip_cuid_5aaad7747e994001,@object ; @__hip_cuid_5aaad7747e994001
	.section	.bss,"aw",@nobits
	.globl	__hip_cuid_5aaad7747e994001
__hip_cuid_5aaad7747e994001:
	.byte	0                               ; 0x0
	.size	__hip_cuid_5aaad7747e994001, 1

	.ident	"AMD clang version 19.0.0git (https://github.com/RadeonOpenCompute/llvm-project roc-6.4.0 25133 c7fe45cf4b819c5991fe208aaa96edf142730f1d)"
	.section	".note.GNU-stack","",@progbits
	.addrsig
	.addrsig_sym __hip_cuid_5aaad7747e994001
	.amdgpu_metadata
---
amdhsa.kernels:
  - .args:
      - .actual_access:  read_only
        .address_space:  global
        .offset:         0
        .size:           8
        .value_kind:     global_buffer
      - .offset:         8
        .size:           8
        .value_kind:     by_value
      - .actual_access:  read_only
        .address_space:  global
        .offset:         16
        .size:           8
        .value_kind:     global_buffer
      - .actual_access:  read_only
        .address_space:  global
        .offset:         24
        .size:           8
        .value_kind:     global_buffer
      - .actual_access:  read_only
        .address_space:  global
        .offset:         32
        .size:           8
        .value_kind:     global_buffer
      - .offset:         40
        .size:           8
        .value_kind:     by_value
      - .actual_access:  read_only
        .address_space:  global
        .offset:         48
        .size:           8
        .value_kind:     global_buffer
      - .actual_access:  read_only
        .address_space:  global
        .offset:         56
        .size:           8
        .value_kind:     global_buffer
      - .offset:         64
        .size:           4
        .value_kind:     by_value
      - .actual_access:  read_only
        .address_space:  global
        .offset:         72
        .size:           8
        .value_kind:     global_buffer
      - .actual_access:  read_only
        .address_space:  global
        .offset:         80
        .size:           8
        .value_kind:     global_buffer
      - .actual_access:  read_only
        .address_space:  global
        .offset:         88
        .size:           8
        .value_kind:     global_buffer
      - .actual_access:  write_only
        .address_space:  global
        .offset:         96
        .size:           8
        .value_kind:     global_buffer
    .group_segment_fixed_size: 0
    .kernarg_segment_align: 8
    .kernarg_segment_size: 104
    .language:       OpenCL C
    .language_version:
      - 2
      - 0
    .max_flat_workgroup_size: 117
    .name:           fft_rtc_fwd_len507_factors_13_3_13_wgs_117_tpt_39_halfLds_dp_op_CI_CI_unitstride_sbrr_dirReg
    .private_segment_fixed_size: 0
    .sgpr_count:     48
    .sgpr_spill_count: 0
    .symbol:         fft_rtc_fwd_len507_factors_13_3_13_wgs_117_tpt_39_halfLds_dp_op_CI_CI_unitstride_sbrr_dirReg.kd
    .uniform_work_group_size: 1
    .uses_dynamic_stack: false
    .vgpr_count:     192
    .vgpr_spill_count: 0
    .wavefront_size: 32
    .workgroup_processor_mode: 1
amdhsa.target:   amdgcn-amd-amdhsa--gfx1030
amdhsa.version:
  - 1
  - 2
...

	.end_amdgpu_metadata
